;; amdgpu-corpus repo=ROCm/rocFFT kind=compiled arch=gfx950 opt=O3
	.text
	.amdgcn_target "amdgcn-amd-amdhsa--gfx950"
	.amdhsa_code_object_version 6
	.protected	bluestein_single_back_len1386_dim1_dp_op_CI_CI ; -- Begin function bluestein_single_back_len1386_dim1_dp_op_CI_CI
	.globl	bluestein_single_back_len1386_dim1_dp_op_CI_CI
	.p2align	8
	.type	bluestein_single_back_len1386_dim1_dp_op_CI_CI,@function
bluestein_single_back_len1386_dim1_dp_op_CI_CI: ; @bluestein_single_back_len1386_dim1_dp_op_CI_CI
; %bb.0:
	s_load_dwordx4 s[12:15], s[0:1], 0x28
	v_mul_u32_u24_e32 v1, 0x11c, v0
	v_mov_b32_e32 v179, 0
	v_add_u32_sdwa v186, s2, v1 dst_sel:DWORD dst_unused:UNUSED_PAD src0_sel:DWORD src1_sel:WORD_1
	v_mov_b32_e32 v187, v179
	s_waitcnt lgkmcnt(0)
	v_cmp_gt_u64_e32 vcc, s[12:13], v[186:187]
	s_and_saveexec_b64 s[2:3], vcc
	s_cbranch_execz .LBB0_18
; %bb.1:
	s_load_dwordx4 s[4:7], s[0:1], 0x18
	s_load_dwordx4 s[8:11], s[0:1], 0x0
	v_mov_b32_e32 v2, s14
	v_mov_b32_e32 v3, s15
	s_movk_i32 s2, 0xe7
	s_waitcnt lgkmcnt(0)
	s_load_dwordx4 s[12:15], s[4:5], 0x0
	v_mul_lo_u16_sdwa v1, v1, s2 dst_sel:DWORD dst_unused:UNUSED_PAD src0_sel:WORD_1 src1_sel:DWORD
	v_sub_u16_e32 v178, v0, v1
	v_mov_b32_e32 v26, 0x2b50
	v_lshlrev_b32_e32 v164, 4, v178
	s_waitcnt lgkmcnt(0)
	v_mad_u64_u32 v[0:1], s[2:3], s14, v186, 0
	v_mov_b32_e32 v4, v1
	v_mad_u64_u32 v[4:5], s[2:3], s15, v186, v[4:5]
	v_mov_b32_e32 v1, v4
	v_mad_u64_u32 v[4:5], s[2:3], s12, v178, 0
	v_mov_b32_e32 v6, v5
	v_mad_u64_u32 v[6:7], s[2:3], s13, v178, v[6:7]
	v_mov_b32_e32 v5, v6
	v_lshl_add_u64 v[0:1], v[0:1], 4, v[2:3]
	v_lshl_add_u64 v[4:5], v[4:5], 4, v[0:1]
	v_mov_b32_e32 v165, v179
	v_mad_u64_u32 v[12:13], s[2:3], s12, v26, v[4:5]
	s_mul_i32 s4, s13, 0x2b50
	v_lshl_add_u64 v[20:21], s[8:9], 0, v[164:165]
	v_add_u32_e32 v13, s4, v13
	s_movk_i32 s2, 0x2000
	v_mov_b32_e32 v18, 0xffffe320
	v_add_co_u32_e32 v14, vcc, s2, v20
	v_mad_u64_u32 v[16:17], s[2:3], s12, v18, v[12:13]
	s_mul_i32 s2, s13, 0xffffe320
	s_sub_i32 s5, s2, s12
	v_add_u32_e32 v17, s5, v17
	v_mad_u64_u32 v[22:23], s[2:3], s12, v26, v[16:17]
	global_load_dwordx4 v[0:3], v[4:5], off
	v_addc_co_u32_e32 v15, vcc, 0, v21, vcc
	s_movk_i32 s2, 0x3000
	global_load_dwordx4 v[4:7], v[12:13], off
	global_load_dwordx4 v[8:11], v[16:17], off
	global_load_dwordx4 v[48:51], v164, s[8:9]
	global_load_dwordx4 v[28:31], v164, s[8:9] offset:3696
	v_add_co_u32_e32 v12, vcc, s2, v20
	v_add_u32_e32 v23, s4, v23
	s_nop 0
	v_addc_co_u32_e32 v13, vcc, 0, v21, vcc
	global_load_dwordx4 v[40:43], v[14:15], off offset:2896
	global_load_dwordx4 v[32:35], v[12:13], off offset:2496
	v_mad_u64_u32 v[24:25], s[2:3], s12, v18, v[22:23]
	v_add_u32_e32 v25, s5, v25
	s_movk_i32 s2, 0x1000
	global_load_dwordx4 v[12:15], v[22:23], off
	global_load_dwordx4 v[16:19], v[24:25], off
	v_add_co_u32_e32 v22, vcc, s2, v20
	v_mad_u64_u32 v[24:25], s[2:3], s12, v26, v[24:25]
	s_nop 0
	v_addc_co_u32_e32 v23, vcc, 0, v21, vcc
	s_movk_i32 s2, 0x4000
	global_load_dwordx4 v[36:39], v[22:23], off offset:3296
	v_add_co_u32_e32 v26, vcc, s2, v20
	v_add_u32_e32 v25, s4, v25
	s_nop 0
	v_addc_co_u32_e32 v27, vcc, 0, v21, vcc
	global_load_dwordx4 v[44:47], v[26:27], off offset:2096
	global_load_dwordx4 v[20:23], v[24:25], off
	s_load_dwordx4 s[4:7], s[6:7], 0x0
	v_lshlrev_b32_e32 v85, 5, v178
	s_load_dwordx2 s[12:13], s[0:1], 0x38
	s_mov_b64 s[0:1], 0xe7
	v_lshl_add_u64 v[76:77], v[178:179], 0, s[0:1]
	s_movk_i32 s0, 0xc6
	v_lshlrev_b32_e32 v170, 5, v76
	v_cmp_gt_u16_e32 vcc, s0, v178
                                        ; implicit-def: $vgpr72_vgpr73
	s_waitcnt vmcnt(8)
	v_mul_f64 v[24:25], v[2:3], v[50:51]
	v_mul_f64 v[26:27], v[0:1], v[50:51]
	v_fmac_f64_e32 v[24:25], v[0:1], v[48:49]
	v_fma_f64 v[26:27], v[2:3], v[48:49], -v[26:27]
	ds_write_b128 v164, v[24:27]
	v_accvgpr_write_b32 a24, v48
	s_waitcnt vmcnt(6)
	v_mul_f64 v[0:1], v[6:7], v[42:43]
	v_mul_f64 v[2:3], v[4:5], v[42:43]
	v_fmac_f64_e32 v[0:1], v[4:5], v[40:41]
	v_fma_f64 v[2:3], v[6:7], v[40:41], -v[2:3]
	ds_write_b128 v164, v[0:3] offset:11088
	v_mul_f64 v[0:1], v[10:11], v[30:31]
	v_mul_f64 v[2:3], v[8:9], v[30:31]
	v_fmac_f64_e32 v[0:1], v[8:9], v[28:29]
	v_fma_f64 v[2:3], v[10:11], v[28:29], -v[2:3]
	ds_write_b128 v164, v[0:3] offset:3696
	s_waitcnt vmcnt(4)
	v_mul_f64 v[0:1], v[14:15], v[34:35]
	v_mul_f64 v[2:3], v[12:13], v[34:35]
	v_fmac_f64_e32 v[0:1], v[12:13], v[32:33]
	v_fma_f64 v[2:3], v[14:15], v[32:33], -v[2:3]
	ds_write_b128 v164, v[0:3] offset:14784
	s_waitcnt vmcnt(2)
	;; [unrolled: 6-line block ×3, first 2 shown]
	v_mul_f64 v[0:1], v[22:23], v[46:47]
	v_mul_f64 v[2:3], v[20:21], v[46:47]
	v_fmac_f64_e32 v[0:1], v[20:21], v[44:45]
	v_fma_f64 v[2:3], v[22:23], v[44:45], -v[2:3]
	ds_write_b128 v164, v[0:3] offset:18480
	s_waitcnt lgkmcnt(0)
	s_barrier
	ds_read_b128 v[0:3], v164 offset:11088
	ds_read_b128 v[4:7], v164
	ds_read_b128 v[8:11], v164 offset:3696
	ds_read_b128 v[12:15], v164 offset:7392
	;; [unrolled: 1-line block ×4, first 2 shown]
	v_accvgpr_write_b32 a16, v40
	v_accvgpr_write_b32 a2, v28
	;; [unrolled: 1-line block ×5, first 2 shown]
	s_waitcnt lgkmcnt(4)
	v_add_f64 v[52:53], v[4:5], -v[0:1]
	v_add_f64 v[54:55], v[6:7], -v[2:3]
	s_waitcnt lgkmcnt(1)
	v_add_f64 v[60:61], v[8:9], -v[16:17]
	v_add_f64 v[62:63], v[10:11], -v[18:19]
	;; [unrolled: 3-line block ×3, first 2 shown]
	v_accvgpr_write_b32 a25, v49
	v_accvgpr_write_b32 a26, v50
	;; [unrolled: 1-line block ×18, first 2 shown]
	v_fma_f64 v[48:49], v[4:5], 2.0, -v[52:53]
	v_fma_f64 v[50:51], v[6:7], 2.0, -v[54:55]
	;; [unrolled: 1-line block ×6, first 2 shown]
	s_barrier
	ds_write_b128 v85, v[48:51]
	ds_write_b128 v85, v[52:55] offset:16
	ds_write_b128 v170, v[56:59]
	ds_write_b128 v170, v[60:63] offset:16
	ds_write_b128 v85, v[64:67] offset:14784
	;; [unrolled: 1-line block ×3, first 2 shown]
	s_waitcnt lgkmcnt(0)
	s_barrier
	s_and_saveexec_b64 s[0:1], vcc
	s_cbranch_execz .LBB0_3
; %bb.2:
	ds_read_b128 v[48:51], v164
	ds_read_b128 v[52:55], v164 offset:3168
	ds_read_b128 v[56:59], v164 offset:6336
	;; [unrolled: 1-line block ×6, first 2 shown]
.LBB0_3:
	s_or_b64 exec, exec, s[0:1]
	v_and_b32_e32 v84, 1, v178
	v_mul_u32_u24_e32 v0, 6, v84
	v_lshlrev_b32_e32 v0, 4, v0
	global_load_dwordx4 v[36:39], v0, s[10:11]
	global_load_dwordx4 v[32:35], v0, s[10:11] offset:16
	global_load_dwordx4 v[28:31], v0, s[10:11] offset:32
	;; [unrolled: 1-line block ×5, first 2 shown]
	s_mov_b32 s16, 0x37e14327
	s_mov_b32 s18, 0xb247c609
	;; [unrolled: 1-line block ×12, first 2 shown]
	v_lshrrev_b32_e32 v86, 1, v178
	s_waitcnt lgkmcnt(0)
	s_barrier
	s_waitcnt vmcnt(5)
	v_mul_f64 v[0:1], v[54:55], v[38:39]
	v_mul_f64 v[2:3], v[52:53], v[38:39]
	s_waitcnt vmcnt(4)
	v_mul_f64 v[4:5], v[58:59], v[34:35]
	v_mul_f64 v[10:11], v[56:57], v[34:35]
	s_waitcnt vmcnt(3)
	v_mul_f64 v[6:7], v[62:63], v[30:31]
	s_waitcnt vmcnt(1)
	v_mul_f64 v[14:15], v[70:71], v[46:47]
	v_mul_f64 v[78:79], v[68:69], v[46:47]
	s_waitcnt vmcnt(0)
	v_mul_f64 v[18:19], v[74:75], v[42:43]
	v_mul_f64 v[22:23], v[72:73], v[42:43]
	;; [unrolled: 1-line block ×5, first 2 shown]
	v_fma_f64 v[0:1], v[52:53], v[36:37], -v[0:1]
	v_fmac_f64_e32 v[2:3], v[54:55], v[36:37]
	v_fma_f64 v[52:53], v[56:57], v[32:33], -v[4:5]
	v_fmac_f64_e32 v[10:11], v[58:59], v[32:33]
	v_fma_f64 v[54:55], v[60:61], v[28:29], -v[6:7]
	v_fma_f64 v[58:59], v[68:69], v[44:45], -v[14:15]
	v_fmac_f64_e32 v[78:79], v[70:71], v[44:45]
	v_fma_f64 v[6:7], v[72:73], v[40:41], -v[18:19]
	v_fmac_f64_e32 v[22:23], v[74:75], v[40:41]
	v_fmac_f64_e32 v[12:13], v[62:63], v[28:29]
	v_fma_f64 v[56:57], v[64:65], v[24:25], -v[8:9]
	v_fmac_f64_e32 v[16:17], v[66:67], v[24:25]
	v_add_f64 v[4:5], v[0:1], v[6:7]
	v_add_f64 v[14:15], v[2:3], v[22:23]
	;; [unrolled: 1-line block ×4, first 2 shown]
	v_add_f64 v[20:21], v[0:1], -v[6:7]
	v_add_f64 v[6:7], v[2:3], -v[22:23]
	;; [unrolled: 1-line block ×4, first 2 shown]
	v_add_f64 v[0:1], v[54:55], v[56:57]
	v_add_f64 v[2:3], v[12:13], v[16:17]
	v_add_f64 v[52:53], v[56:57], -v[54:55]
	v_add_f64 v[12:13], v[16:17], -v[12:13]
	v_add_f64 v[16:17], v[8:9], v[4:5]
	v_add_f64 v[54:55], v[18:19], v[14:15]
	v_add_f64 v[56:57], v[4:5], -v[0:1]
	v_add_f64 v[58:59], v[14:15], -v[2:3]
	v_add_f64 v[60:61], v[52:53], v[22:23]
	v_add_f64 v[68:69], v[52:53], -v[22:23]
	v_add_f64 v[52:53], v[20:21], -v[52:53]
	;; [unrolled: 3-line block ×3, first 2 shown]
	v_add_f64 v[16:17], v[0:1], v[16:17]
	v_add_f64 v[80:81], v[2:3], v[54:55]
	v_add_f64 v[64:65], v[0:1], -v[8:9]
	v_add_f64 v[66:67], v[2:3], -v[18:19]
	v_add_f64 v[78:79], v[62:63], v[6:7]
	v_mul_f64 v[56:57], v[56:57], s[16:17]
	v_mul_f64 v[62:63], v[58:59], s[16:17]
	;; [unrolled: 1-line block ×4, first 2 shown]
	v_add_f64 v[48:49], v[48:49], v[16:17]
	v_add_f64 v[50:51], v[50:51], v[80:81]
	;; [unrolled: 1-line block ×3, first 2 shown]
	v_fma_f64 v[2:3], s[14:15], v[68:69], v[72:73]
	v_fma_f64 v[0:1], s[14:15], v[70:71], v[58:59]
	;; [unrolled: 1-line block ×6, first 2 shown]
	v_fmac_f64_e32 v[2:3], s[0:1], v[74:75]
	v_fmac_f64_e32 v[0:1], s[0:1], v[78:79]
	v_add_f64 v[12:13], v[12:13], v[54:55]
	v_add_f64 v[16:17], v[52:53], v[60:61]
	v_add_f64 v[108:109], v[12:13], -v[0:1]
	v_add_f64 v[110:111], v[2:3], v[16:17]
	v_mov_b32_e32 v53, 0
	s_and_saveexec_b64 s[16:17], vcc
	s_cbranch_execz .LBB0_5
; %bb.4:
	v_mul_f64 v[64:65], v[64:65], s[2:3]
	v_mul_f64 v[66:67], v[66:67], s[2:3]
	s_mov_b32 s3, 0xbfe77f67
	s_mov_b32 s2, 0x5476071b
	v_add_f64 v[4:5], v[8:9], -v[4:5]
	v_fma_f64 v[8:9], v[4:5], s[2:3], -v[56:57]
	v_mul_f64 v[74:75], v[74:75], s[0:1]
	v_mul_f64 v[78:79], v[78:79], s[0:1]
	s_mov_b32 s1, 0xbfebfeb5
	s_mov_b32 s0, 0x429ad128
	v_add_f64 v[14:15], v[18:19], -v[14:15]
	v_add_f64 v[80:81], v[8:9], v[54:55]
	v_add_f64 v[8:9], v[10:11], -v[6:7]
	v_add_f64 v[22:23], v[22:23], -v[20:21]
	v_fma_f64 v[18:19], v[14:15], s[2:3], -v[62:63]
	v_fma_f64 v[6:7], v[8:9], s[0:1], -v[58:59]
	s_mov_b32 s3, 0x3fe77f67
	v_mul_f64 v[68:69], v[68:69], s[14:15]
	v_mul_f64 v[70:71], v[70:71], s[14:15]
	v_fma_f64 v[20:21], v[22:23], s[0:1], -v[72:73]
	v_add_f64 v[58:59], v[78:79], v[6:7]
	v_fma_f64 v[6:7], v[14:15], s[2:3], -v[66:67]
	s_mov_b32 s1, 0x3febfeb5
	v_fma_f64 v[4:5], v[4:5], s[2:3], -v[64:65]
	v_add_f64 v[0:1], v[0:1], v[12:13]
	v_mul_u32_u24_e32 v12, 14, v86
	v_add_f64 v[10:11], v[6:7], v[60:61]
	v_fma_f64 v[6:7], v[22:23], s[0:1], -v[68:69]
	v_add_f64 v[22:23], v[4:5], v[54:55]
	v_fma_f64 v[4:5], v[8:9], s[0:1], -v[70:71]
	v_or_b32_e32 v12, v12, v84
	v_add_f64 v[72:73], v[74:75], v[20:21]
	v_add_f64 v[62:63], v[18:19], v[60:61]
	;; [unrolled: 1-line block ×4, first 2 shown]
	v_lshlrev_b32_e32 v12, 4, v12
	v_add_f64 v[20:21], v[72:73], v[62:63]
	v_add_f64 v[18:19], v[80:81], -v[58:59]
	v_add_f64 v[6:7], v[10:11], -v[14:15]
	v_add_f64 v[4:5], v[8:9], v[22:23]
	v_add_f64 v[10:11], v[14:15], v[10:11]
	v_add_f64 v[8:9], v[22:23], -v[8:9]
	v_add_f64 v[56:57], v[62:63], -v[72:73]
	v_add_f64 v[54:55], v[58:59], v[80:81]
	v_add_f64 v[2:3], v[16:17], -v[2:3]
	ds_write_b128 v12, v[48:51]
	ds_write_b128 v12, v[0:3] offset:32
	ds_write_b128 v12, v[54:57] offset:64
	;; [unrolled: 1-line block ×6, first 2 shown]
.LBB0_5:
	s_or_b64 exec, exec, s[16:17]
	v_lshrrev_b16_e32 v2, 1, v76
	v_mul_u32_u24_e32 v2, 0x4925, v2
	v_lshrrev_b16_e32 v0, 1, v178
	v_lshrrev_b32_e32 v18, 17, v2
	v_and_b32_e32 v0, 0x7f, v0
	v_mul_lo_u16_e32 v2, 14, v18
	v_mul_lo_u16_e32 v1, 0x93, v0
	v_sub_u16_e32 v19, v76, v2
	v_lshrrev_b16_e32 v1, 10, v1
	v_lshlrev_b16_e32 v52, 5, v19
	v_mul_lo_u16_e32 v4, 14, v1
	v_lshl_add_u64 v[2:3], s[10:11], 0, v[52:53]
	s_waitcnt lgkmcnt(0)
	s_barrier
	global_load_dwordx4 v[48:51], v[2:3], off offset:208
	global_load_dwordx4 v[52:55], v[2:3], off offset:192
	v_sub_u16_e32 v2, v178, v4
	v_and_b32_e32 v20, 0xff, v2
	v_lshlrev_b32_e32 v2, 5, v20
	global_load_dwordx4 v[64:67], v2, s[10:11] offset:192
	global_load_dwordx4 v[60:63], v2, s[10:11] offset:208
	ds_read_b128 v[112:115], v164
	ds_read_b128 v[116:119], v164 offset:3696
	ds_read_b128 v[2:5], v164 offset:7392
	;; [unrolled: 1-line block ×5, first 2 shown]
	v_mul_u32_u24_e32 v1, 42, v1
	v_mad_legacy_u16 v18, v18, 42, v19
	v_lshlrev_b32_e32 v87, 4, v18
	v_add_lshl_u32 v1, v1, v20, 4
	s_mov_b32 s0, 0xe8584caa
	s_mov_b32 s1, 0x3febb67a
	;; [unrolled: 1-line block ×3, first 2 shown]
	s_movk_i32 s14, 0x7e
	s_mov_b32 s2, s0
	v_lshlrev_b32_e32 v171, 1, v178
	v_accvgpr_write_b32 a44, v1
	s_waitcnt lgkmcnt(0)
	s_barrier
	s_waitcnt lgkmcnt(0)
                                        ; implicit-def: $vgpr132_vgpr133
                                        ; implicit-def: $vgpr136_vgpr137
                                        ; implicit-def: $vgpr140_vgpr141
                                        ; implicit-def: $vgpr144_vgpr145
	s_waitcnt vmcnt(3)
	v_mul_f64 v[22:23], v[16:17], v[50:51]
	s_waitcnt vmcnt(2)
	v_mul_f64 v[18:19], v[8:9], v[54:55]
	v_mul_f64 v[20:21], v[6:7], v[54:55]
	;; [unrolled: 1-line block ×3, first 2 shown]
	s_waitcnt vmcnt(1)
	v_mul_f64 v[68:69], v[4:5], v[66:67]
	v_mul_f64 v[70:71], v[2:3], v[66:67]
	s_waitcnt vmcnt(0)
	v_mul_f64 v[72:73], v[12:13], v[62:63]
	v_mul_f64 v[74:75], v[10:11], v[62:63]
	v_fma_f64 v[6:7], v[6:7], v[52:53], -v[18:19]
	v_fmac_f64_e32 v[20:21], v[8:9], v[52:53]
	v_fma_f64 v[8:9], v[14:15], v[48:49], -v[22:23]
	v_fmac_f64_e32 v[56:57], v[16:17], v[48:49]
	;; [unrolled: 2-line block ×4, first 2 shown]
	v_add_f64 v[12:13], v[6:7], v[8:9]
	v_add_f64 v[18:19], v[20:21], v[56:57]
	;; [unrolled: 1-line block ×3, first 2 shown]
	v_add_f64 v[68:69], v[70:71], -v[74:75]
	v_add_f64 v[72:73], v[114:115], v[70:71]
	v_add_f64 v[70:71], v[70:71], v[74:75]
	;; [unrolled: 1-line block ×3, first 2 shown]
	v_add_f64 v[14:15], v[20:21], -v[56:57]
	v_add_f64 v[16:17], v[118:119], v[20:21]
	v_add_f64 v[6:7], v[6:7], -v[8:9]
	v_add_f64 v[20:21], v[112:113], v[2:3]
	v_add_f64 v[2:3], v[2:3], -v[4:5]
	v_fmac_f64_e32 v[116:117], -0.5, v[12:13]
	v_fmac_f64_e32 v[118:119], -0.5, v[18:19]
	;; [unrolled: 1-line block ×4, first 2 shown]
	v_add_f64 v[124:125], v[10:11], v[8:9]
	v_add_f64 v[126:127], v[16:17], v[56:57]
	v_add_f64 v[104:105], v[20:21], v[4:5]
	v_add_f64 v[106:107], v[72:73], v[74:75]
	v_fma_f64 v[128:129], s[0:1], v[14:15], v[116:117]
	v_fmac_f64_e32 v[116:117], s[2:3], v[14:15]
	v_fma_f64 v[130:131], s[2:3], v[6:7], v[118:119]
	v_fmac_f64_e32 v[118:119], s[0:1], v[6:7]
	;; [unrolled: 2-line block ×4, first 2 shown]
	v_cmp_gt_u16_e64 s[0:1], s14, v178
	ds_write_b128 v1, v[104:107]
	ds_write_b128 v1, v[120:123] offset:224
	ds_write_b128 v1, v[112:115] offset:448
	ds_write_b128 v87, v[124:127]
	ds_write_b128 v87, v[128:131] offset:224
	ds_write_b128 v87, v[116:119] offset:448
	s_waitcnt lgkmcnt(0)
	s_barrier
	s_and_saveexec_b64 s[2:3], s[0:1]
	s_cbranch_execz .LBB0_7
; %bb.6:
	ds_read_b128 v[104:107], v164
	ds_read_b128 v[120:123], v164 offset:2016
	ds_read_b128 v[112:115], v164 offset:4032
	;; [unrolled: 1-line block ×10, first 2 shown]
.LBB0_7:
	s_or_b64 exec, exec, s[2:3]
	v_mul_lo_u16_e32 v0, 49, v0
	v_lshrrev_b16_e32 v179, 10, v0
	v_mul_lo_u16_e32 v0, 42, v179
	v_sub_u16_e32 v0, v178, v0
	v_and_b32_e32 v187, 0xff, v0
	s_movk_i32 s2, 0xa0
	v_mov_b64_e32 v[0:1], s[10:11]
	v_mad_u64_u32 v[0:1], s[2:3], v187, s2, v[0:1]
	global_load_dwordx4 v[20:23], v[0:1], off offset:640
	global_load_dwordx4 v[56:59], v[0:1], off offset:656
	;; [unrolled: 1-line block ×10, first 2 shown]
	s_mov_b32 s22, 0xf8bb580b
	s_mov_b32 s2, 0x8764f0ba
	;; [unrolled: 1-line block ×26, first 2 shown]
	v_add_u32_e32 v165, 0x39c0, v85
	s_waitcnt lgkmcnt(0)
	s_barrier
	s_waitcnt vmcnt(9)
	v_mul_f64 v[148:149], v[120:121], v[22:23]
	v_mul_f64 v[0:1], v[122:123], v[22:23]
	s_waitcnt vmcnt(8)
	v_mul_f64 v[150:151], v[112:113], v[58:59]
	v_fmac_f64_e32 v[148:149], v[122:123], v[20:21]
	v_mul_f64 v[2:3], v[114:115], v[58:59]
	s_waitcnt vmcnt(7)
	v_mul_f64 v[4:5], v[126:127], v[70:71]
	v_mul_f64 v[152:153], v[124:125], v[70:71]
	s_waitcnt vmcnt(2)
	v_mul_f64 v[162:163], v[136:137], v[82:83]
	s_waitcnt vmcnt(1)
	;; [unrolled: 2-line block ×3, first 2 shown]
	v_mul_f64 v[176:177], v[144:145], v[78:79]
	v_mul_f64 v[18:19], v[146:147], v[78:79]
	v_accvgpr_write_b32 a54, v80
	v_fmac_f64_e32 v[176:177], v[146:147], v[76:77]
	v_mul_f64 v[6:7], v[130:131], v[74:75]
	v_mul_f64 v[154:155], v[128:129], v[74:75]
	v_mul_f64 v[10:11], v[110:111], v[98:99]
	v_mul_f64 v[14:15], v[138:139], v[82:83]
	v_mul_f64 v[16:17], v[142:143], v[90:91]
	v_fma_f64 v[0:1], v[120:121], v[20:21], -v[0:1]
	v_accvgpr_write_b32 a36, v56
	v_fmac_f64_e32 v[150:151], v[114:115], v[56:57]
	v_accvgpr_write_b32 a40, v68
	v_accvgpr_write_b32 a46, v72
	;; [unrolled: 1-line block ×5, first 2 shown]
	v_fmac_f64_e32 v[162:163], v[138:139], v[80:81]
	v_fmac_f64_e32 v[172:173], v[142:143], v[88:89]
	v_fma_f64 v[82:83], v[144:145], v[76:77], -v[18:19]
	v_accvgpr_write_b32 a50, v76
	v_add_f64 v[138:139], v[148:149], -v[176:177]
	v_mul_f64 v[158:159], v[108:109], v[98:99]
	v_fma_f64 v[2:3], v[112:113], v[56:57], -v[2:3]
	v_accvgpr_write_b32 a37, v57
	v_accvgpr_write_b32 a38, v58
	;; [unrolled: 1-line block ×3, first 2 shown]
	v_fma_f64 v[114:115], v[124:125], v[68:69], -v[4:5]
	v_accvgpr_write_b32 a41, v69
	v_accvgpr_write_b32 a42, v70
	;; [unrolled: 1-line block ×3, first 2 shown]
	v_fmac_f64_e32 v[152:153], v[126:127], v[68:69]
	v_fma_f64 v[68:69], v[128:129], v[72:73], -v[6:7]
	v_accvgpr_write_b32 a47, v73
	v_accvgpr_write_b32 a48, v74
	;; [unrolled: 1-line block ×3, first 2 shown]
	v_fmac_f64_e32 v[154:155], v[130:131], v[72:73]
	v_fma_f64 v[72:73], v[108:109], v[96:97], -v[10:11]
	v_fma_f64 v[108:109], v[136:137], v[80:81], -v[14:15]
	;; [unrolled: 1-line block ×3, first 2 shown]
	v_accvgpr_write_b32 a51, v77
	v_accvgpr_write_b32 a52, v78
	;; [unrolled: 1-line block ×3, first 2 shown]
	v_add_f64 v[192:193], v[0:1], v[82:83]
	v_accvgpr_write_b32 a59, v1
	v_add_f64 v[136:137], v[0:1], -v[82:83]
	v_add_f64 v[56:57], v[150:151], -v[172:173]
	v_mul_f64 v[76:77], v[138:139], s[22:23]
	v_mul_f64 v[8:9], v[118:119], v[102:103]
	;; [unrolled: 1-line block ×4, first 2 shown]
	v_fmac_f64_e32 v[158:159], v[110:111], v[96:97]
	v_add_f64 v[194:195], v[148:149], v[176:177]
	v_accvgpr_write_b32 a58, v0
	v_add_f64 v[200:201], v[2:3], v[80:81]
	v_accvgpr_write_b32 a61, v3
	v_add_f64 v[224:225], v[2:3], -v[80:81]
	v_add_f64 v[146:147], v[152:153], -v[162:163]
	v_mul_f64 v[110:111], v[136:137], s[22:23]
	v_mul_f64 v[78:79], v[56:57], s[18:19]
	v_fma_f64 v[0:1], s[2:3], v[192:193], v[76:77]
	v_mul_f64 v[12:13], v[134:135], v[94:95]
	v_fma_f64 v[70:71], v[116:117], v[100:101], -v[8:9]
	v_fmac_f64_e32 v[156:157], v[118:119], v[100:101]
	v_fmac_f64_e32 v[160:161], v[134:135], v[92:93]
	v_add_f64 v[202:203], v[150:151], v[172:173]
	v_accvgpr_write_b32 a60, v2
	v_add_f64 v[214:215], v[114:115], v[108:109]
	v_mul_f64 v[116:117], v[224:225], s[18:19]
	v_fma_f64 v[2:3], v[194:195], s[2:3], -v[110:111]
	v_fma_f64 v[4:5], s[14:15], v[200:201], v[78:79]
	v_add_f64 v[0:1], v[104:105], v[0:1]
	v_mul_f64 v[118:119], v[146:147], s[20:21]
	v_add_f64 v[168:169], v[114:115], -v[108:109]
	v_fma_f64 v[74:75], v[132:133], v[92:93], -v[12:13]
	v_fma_f64 v[6:7], v[202:203], s[14:15], -v[116:117]
	v_add_f64 v[2:3], v[106:107], v[2:3]
	v_add_f64 v[0:1], v[4:5], v[0:1]
	v_fma_f64 v[4:5], s[16:17], v[214:215], v[118:119]
	v_add_f64 v[226:227], v[152:153], v[162:163]
	v_mul_f64 v[140:141], v[168:169], s[20:21]
	v_add_f64 v[184:185], v[154:155], -v[160:161]
	v_add_f64 v[2:3], v[6:7], v[2:3]
	v_add_f64 v[0:1], v[4:5], v[0:1]
	v_fma_f64 v[4:5], v[226:227], s[16:17], -v[140:141]
	v_add_f64 v[228:229], v[68:69], v[74:75]
	v_mul_f64 v[188:189], v[184:185], s[28:29]
	v_add_f64 v[58:59], v[68:69], -v[74:75]
	v_add_f64 v[2:3], v[4:5], v[2:3]
	v_fma_f64 v[4:5], s[24:25], v[228:229], v[188:189]
	v_add_f64 v[232:233], v[154:155], v[160:161]
	v_mul_f64 v[190:191], v[58:59], s[28:29]
	v_add_f64 v[174:175], v[156:157], -v[158:159]
	v_add_f64 v[0:1], v[4:5], v[0:1]
	v_fma_f64 v[4:5], v[232:233], s[24:25], -v[190:191]
	v_add_f64 v[236:237], v[70:71], v[72:73]
	v_mul_f64 v[196:197], v[174:175], s[30:31]
	v_add_f64 v[112:113], v[70:71], -v[72:73]
	v_add_f64 v[2:3], v[4:5], v[2:3]
	v_fma_f64 v[4:5], s[26:27], v[236:237], v[196:197]
	v_add_f64 v[240:241], v[156:157], v[158:159]
	v_mul_f64 v[198:199], v[112:113], s[30:31]
	v_add_f64 v[120:121], v[4:5], v[0:1]
	v_fma_f64 v[0:1], v[240:241], s[26:27], -v[198:199]
	v_mul_f64 v[204:205], v[138:139], s[18:19]
	v_add_f64 v[122:123], v[0:1], v[2:3]
	v_fma_f64 v[0:1], s[14:15], v[192:193], v[204:205]
	v_mul_f64 v[206:207], v[56:57], s[28:29]
	v_add_f64 v[0:1], v[104:105], v[0:1]
	v_fma_f64 v[2:3], s[24:25], v[200:201], v[206:207]
	v_mul_f64 v[210:211], v[136:137], s[18:19]
	v_add_f64 v[0:1], v[2:3], v[0:1]
	v_fma_f64 v[2:3], v[194:195], s[14:15], -v[210:211]
	v_mul_f64 v[212:213], v[224:225], s[28:29]
	v_add_f64 v[2:3], v[106:107], v[2:3]
	v_fma_f64 v[4:5], v[202:203], s[24:25], -v[212:213]
	v_mul_f64 v[208:209], v[146:147], s[34:35]
	v_add_f64 v[2:3], v[4:5], v[2:3]
	v_fma_f64 v[4:5], s[26:27], v[214:215], v[208:209]
	v_mul_f64 v[218:219], v[168:169], s[34:35]
	v_add_f64 v[0:1], v[4:5], v[0:1]
	v_fma_f64 v[4:5], v[226:227], s[26:27], -v[218:219]
	v_mul_f64 v[216:217], v[184:185], s[36:37]
	v_add_f64 v[2:3], v[4:5], v[2:3]
	v_fma_f64 v[4:5], s[16:17], v[228:229], v[216:217]
	v_mul_f64 v[222:223], v[58:59], s[36:37]
	v_add_f64 v[0:1], v[4:5], v[0:1]
	v_fma_f64 v[4:5], v[232:233], s[16:17], -v[222:223]
	v_mul_f64 v[220:221], v[174:175], s[38:39]
	v_add_f64 v[2:3], v[4:5], v[2:3]
	v_fma_f64 v[4:5], s[2:3], v[236:237], v[220:221]
	v_mul_f64 v[230:231], v[112:113], s[38:39]
	v_add_f64 v[124:125], v[4:5], v[0:1]
	v_fma_f64 v[0:1], v[240:241], s[2:3], -v[230:231]
	v_mul_f64 v[234:235], v[138:139], s[20:21]
	v_add_f64 v[126:127], v[0:1], v[2:3]
	v_fma_f64 v[0:1], s[16:17], v[192:193], v[234:235]
	v_mul_f64 v[238:239], v[56:57], s[34:35]
	v_add_f64 v[0:1], v[104:105], v[0:1]
	v_fma_f64 v[2:3], s[26:27], v[200:201], v[238:239]
	v_mul_f64 v[244:245], v[136:137], s[20:21]
	v_add_f64 v[0:1], v[2:3], v[0:1]
	v_fma_f64 v[2:3], v[194:195], s[16:17], -v[244:245]
	v_mul_f64 v[246:247], v[224:225], s[34:35]
	s_mov_b32 s19, 0x3fed1bb4
	v_add_f64 v[2:3], v[106:107], v[2:3]
	v_fma_f64 v[4:5], v[202:203], s[26:27], -v[246:247]
	v_mul_f64 v[242:243], v[146:147], s[18:19]
	v_add_f64 v[2:3], v[4:5], v[2:3]
	v_fma_f64 v[4:5], s[14:15], v[214:215], v[242:243]
	v_mul_f64 v[252:253], v[168:169], s[18:19]
	v_add_f64 v[0:1], v[4:5], v[0:1]
	v_fma_f64 v[4:5], v[226:227], s[14:15], -v[252:253]
	v_mul_f64 v[248:249], v[184:185], s[22:23]
	v_add_f64 v[2:3], v[4:5], v[2:3]
	v_fma_f64 v[4:5], s[2:3], v[228:229], v[248:249]
	v_mul_f64 v[254:255], v[58:59], s[22:23]
	v_add_f64 v[0:1], v[4:5], v[0:1]
	v_fma_f64 v[4:5], v[232:233], s[2:3], -v[254:255]
	v_mul_f64 v[250:251], v[174:175], s[28:29]
	v_add_f64 v[2:3], v[4:5], v[2:3]
	v_fma_f64 v[4:5], s[24:25], v[236:237], v[250:251]
	v_add_f64 v[128:129], v[4:5], v[0:1]
	v_mul_f64 v[0:1], v[112:113], s[28:29]
	v_fma_f64 v[4:5], v[240:241], s[24:25], -v[0:1]
	v_add_f64 v[130:131], v[4:5], v[2:3]
	v_mul_f64 v[2:3], v[138:139], s[28:29]
	v_fma_f64 v[4:5], s[24:25], v[192:193], v[2:3]
	v_add_f64 v[6:7], v[104:105], v[4:5]
	v_mul_f64 v[4:5], v[56:57], s[36:37]
	v_fma_f64 v[8:9], s[16:17], v[200:201], v[4:5]
	v_add_f64 v[10:11], v[8:9], v[6:7]
	v_mul_f64 v[8:9], v[136:137], s[28:29]
	v_fma_f64 v[6:7], v[194:195], s[24:25], -v[8:9]
	v_mul_f64 v[12:13], v[224:225], s[36:37]
	v_add_f64 v[6:7], v[106:107], v[6:7]
	v_fma_f64 v[14:15], v[202:203], s[16:17], -v[12:13]
	v_add_f64 v[14:15], v[14:15], v[6:7]
	v_mul_f64 v[6:7], v[146:147], s[22:23]
	v_fma_f64 v[16:17], s[2:3], v[214:215], v[6:7]
	v_add_f64 v[18:19], v[16:17], v[10:11]
	v_mul_f64 v[16:17], v[168:169], s[22:23]
	v_fma_f64 v[10:11], v[226:227], s[2:3], -v[16:17]
	v_accvgpr_write_b32 a35, v23
	v_add_f64 v[14:15], v[10:11], v[14:15]
	v_mul_f64 v[10:11], v[184:185], s[30:31]
	v_accvgpr_write_b32 a34, v22
	v_accvgpr_write_b32 a33, v21
	;; [unrolled: 1-line block ×3, first 2 shown]
	v_fma_f64 v[20:21], s[26:27], v[228:229], v[10:11]
	v_add_f64 v[20:21], v[20:21], v[18:19]
	v_mul_f64 v[18:19], v[58:59], s[30:31]
	v_fma_f64 v[22:23], v[232:233], s[26:27], -v[18:19]
	v_add_f64 v[22:23], v[22:23], v[14:15]
	v_mul_f64 v[14:15], v[174:175], s[18:19]
	v_fma_f64 v[132:133], s[14:15], v[236:237], v[14:15]
	v_add_f64 v[132:133], v[132:133], v[20:21]
	v_mul_f64 v[20:21], v[112:113], s[18:19]
	v_fma_f64 v[134:135], v[240:241], s[14:15], -v[20:21]
	v_add_f64 v[134:135], v[134:135], v[22:23]
	v_mul_f64 v[22:23], v[138:139], s[30:31]
	v_fma_f64 v[138:139], s[26:27], v[192:193], v[22:23]
	v_mul_f64 v[166:167], v[56:57], s[38:39]
	v_mul_f64 v[144:145], v[136:137], s[30:31]
	v_add_f64 v[138:139], v[104:105], v[138:139]
	v_fma_f64 v[56:57], s[2:3], v[200:201], v[166:167]
	v_fma_f64 v[136:137], v[194:195], s[26:27], -v[144:145]
	v_mul_f64 v[180:181], v[224:225], s[38:39]
	v_add_f64 v[56:57], v[56:57], v[138:139]
	v_add_f64 v[136:137], v[106:107], v[136:137]
	v_fma_f64 v[138:139], v[202:203], s[2:3], -v[180:181]
	v_mul_f64 v[224:225], v[146:147], s[28:29]
	v_add_f64 v[136:137], v[138:139], v[136:137]
	v_fma_f64 v[138:139], s[24:25], v[214:215], v[224:225]
	v_mul_f64 v[182:183], v[168:169], s[28:29]
	v_add_f64 v[56:57], v[138:139], v[56:57]
	v_fma_f64 v[138:139], v[226:227], s[24:25], -v[182:183]
	v_mul_f64 v[168:169], v[184:185], s[18:19]
	v_add_f64 v[136:137], v[138:139], v[136:137]
	v_fma_f64 v[138:139], s[14:15], v[228:229], v[168:169]
	v_mul_f64 v[184:185], v[58:59], s[18:19]
	v_add_f64 v[138:139], v[138:139], v[56:57]
	v_fma_f64 v[56:57], v[232:233], s[14:15], -v[184:185]
	v_mul_f64 v[146:147], v[174:175], s[20:21]
	v_add_f64 v[58:59], v[56:57], v[136:137]
	v_mul_f64 v[56:57], v[112:113], s[20:21]
	v_fma_f64 v[112:113], s[16:17], v[236:237], v[146:147]
	v_add_f64 v[136:137], v[112:113], v[138:139]
	v_fma_f64 v[112:113], v[240:241], s[16:17], -v[56:57]
	v_add_f64 v[138:139], v[112:113], v[58:59]
	s_and_saveexec_b64 s[18:19], s[0:1]
	s_cbranch_execz .LBB0_9
; %bb.8:
	v_mul_f64 v[112:113], v[200:201], s[14:15]
	v_accvgpr_write_b32 a80, v112
	v_accvgpr_write_b32 a81, v113
	v_mul_f64 v[112:113], v[202:203], s[14:15]
	v_accvgpr_write_b32 a86, v112
	v_mul_f64 v[58:59], v[192:193], s[2:3]
	;; [unrolled: 2-line block ×3, first 2 shown]
	v_accvgpr_write_b32 a75, v59
	v_accvgpr_write_b32 a104, v112
	;; [unrolled: 1-line block ×3, first 2 shown]
	v_mul_f64 v[58:59], v[194:195], s[2:3]
	v_accvgpr_write_b32 a64, v70
	v_accvgpr_write_b32 a105, v113
	v_mul_f64 v[112:113], v[214:215], s[16:17]
	v_accvgpr_write_b32 a83, v59
	v_accvgpr_write_b32 a65, v71
	;; [unrolled: 3-line block ×3, first 2 shown]
	v_accvgpr_write_b32 a100, v110
	v_accvgpr_write_b32 a88, v118
	;; [unrolled: 1-line block ×5, first 2 shown]
	v_mul_f64 v[58:59], v[192:193], s[14:15]
	v_accvgpr_write_b32 a66, v114
	v_accvgpr_write_b32 a68, v72
	;; [unrolled: 1-line block ×3, first 2 shown]
	v_mul_f64 v[74:75], v[200:201], s[16:17]
	v_accvgpr_write_b32 a72, v108
	v_accvgpr_write_b32 a85, v113
	v_mul_f64 v[112:113], v[226:227], s[16:17]
	v_accvgpr_write_b32 a101, v111
	v_mul_f64 v[110:111], v[214:215], s[26:27]
	v_accvgpr_write_b32 a10, v186
	v_accvgpr_write_b32 a11, v187
	v_mul_f64 v[186:187], v[226:227], s[26:27]
	v_accvgpr_write_b32 a89, v119
	v_mul_f64 v[118:119], v[214:215], s[14:15]
	v_mov_b64_e32 v[174:175], v[140:141]
	v_mul_f64 v[140:141], v[226:227], s[14:15]
	v_mul_f64 v[142:143], v[214:215], s[2:3]
	v_accvgpr_write_b32 a92, v76
	v_mul_f64 v[76:77], v[226:227], s[2:3]
	v_accvgpr_write_b32 a96, v78
	v_mul_f64 v[78:79], v[214:215], s[24:25]
	v_mul_f64 v[214:215], v[226:227], s[24:25]
	;; [unrolled: 1-line block ×3, first 2 shown]
	v_add_f64 v[2:3], v[70:71], -v[2:3]
	v_accvgpr_write_b32 a91, v59
	v_accvgpr_write_b32 a67, v115
	v_mul_f64 v[114:115], v[194:195], s[24:25]
	v_accvgpr_write_b32 a0, v178
	v_accvgpr_write_b32 a1, v179
	v_mul_f64 v[178:179], v[202:203], s[24:25]
	v_accvgpr_write_b32 a69, v73
	v_mul_f64 v[72:73], v[202:203], s[26:27]
	v_accvgpr_write_b32 a73, v109
	v_mul_f64 v[108:109], v[202:203], s[16:17]
	v_mul_f64 v[202:203], v[202:203], s[2:3]
	v_accvgpr_write_b32 a102, v112
	v_accvgpr_write_b32 a76, v80
	v_add_f64 v[56:57], v[56:57], v[226:227]
	v_mul_f64 v[226:227], v[232:233], s[14:15]
	v_add_f64 v[4:5], v[74:75], -v[4:5]
	v_add_f64 v[2:3], v[104:105], v[2:3]
	v_accvgpr_write_b32 a90, v58
	v_mul_f64 v[58:59], v[194:195], s[14:15]
	v_accvgpr_write_b32 a103, v113
	v_mul_f64 v[112:113], v[228:229], s[24:25]
	;; [unrolled: 2-line block ×3, first 2 shown]
	v_add_f64 v[184:185], v[184:185], v[226:227]
	v_mul_f64 v[226:227], v[228:229], s[2:3]
	v_add_f64 v[180:181], v[180:181], v[202:203]
	v_mul_f64 v[202:203], v[228:229], s[26:27]
	v_mul_f64 v[228:229], v[228:229], s[14:15]
	v_add_f64 v[8:9], v[8:9], v[114:115]
	v_add_f64 v[6:7], v[142:143], -v[6:7]
	v_add_f64 v[2:3], v[4:5], v[2:3]
	v_accvgpr_write_b32 a107, v59
	v_accvgpr_write_b32 a62, v68
	;; [unrolled: 1-line block ×4, first 2 shown]
	v_add_f64 v[86:87], v[228:229], -v[168:169]
	v_mul_f64 v[228:229], v[236:237], s[14:15]
	v_add_f64 v[12:13], v[12:13], v[108:109]
	v_add_f64 v[8:9], v[106:107], v[8:9]
	v_add_f64 v[10:11], v[202:203], -v[10:11]
	v_add_f64 v[2:3], v[6:7], v[2:3]
	v_accvgpr_write_b32 a106, v58
	v_accvgpr_write_b32 a63, v69
	v_mul_f64 v[68:69], v[194:195], s[16:17]
	v_mul_f64 v[194:195], v[194:195], s[26:27]
	v_add_f64 v[16:17], v[16:17], v[76:77]
	v_add_f64 v[8:9], v[12:13], v[8:9]
	v_add_f64 v[12:13], v[228:229], -v[14:15]
	v_add_f64 v[2:3], v[10:11], v[2:3]
	v_mul_f64 v[58:59], v[192:193], s[16:17]
	v_accvgpr_write_b32 a94, v116
	v_accvgpr_write_b32 a98, v112
	;; [unrolled: 1-line block ×3, first 2 shown]
	v_add_f64 v[144:145], v[144:145], v[194:195]
	v_add_f64 v[8:9], v[16:17], v[8:9]
	;; [unrolled: 1-line block ×4, first 2 shown]
	v_accvgpr_read_b32 v16, a106
	v_accvgpr_write_b32 a95, v117
	v_mul_f64 v[116:117], v[200:201], s[26:27]
	v_accvgpr_write_b32 a99, v113
	v_mul_f64 v[112:113], v[232:233], s[24:25]
	;; [unrolled: 2-line block ×3, first 2 shown]
	v_add_f64 v[182:183], v[182:183], v[214:215]
	v_mul_f64 v[214:215], v[232:233], s[2:3]
	v_mul_f64 v[232:233], v[232:233], s[26:27]
	v_add_f64 v[144:145], v[106:107], v[144:145]
	v_add_f64 v[10:11], v[246:247], v[72:73]
	;; [unrolled: 1-line block ×3, first 2 shown]
	v_add_f64 v[14:15], v[58:59], -v[234:235]
	v_accvgpr_read_b32 v17, a107
	v_add_f64 v[144:145], v[180:181], v[144:145]
	v_add_f64 v[18:19], v[18:19], v[232:233]
	;; [unrolled: 1-line block ×3, first 2 shown]
	v_add_f64 v[12:13], v[116:117], -v[238:239]
	v_add_f64 v[14:15], v[104:105], v[14:15]
	v_add_f64 v[16:17], v[210:211], v[16:17]
	v_mul_f64 v[192:193], v[192:193], s[26:27]
	v_add_f64 v[144:145], v[182:183], v[144:145]
	v_add_f64 v[8:9], v[18:19], v[8:9]
	;; [unrolled: 1-line block ×5, first 2 shown]
	v_accvgpr_read_b32 v18, a90
	v_mul_f64 v[200:201], v[200:201], s[2:3]
	v_add_f64 v[144:145], v[184:185], v[144:145]
	v_mul_f64 v[184:185], v[236:237], s[16:17]
	v_add_f64 v[22:23], v[192:193], -v[22:23]
	v_add_f64 v[14:15], v[14:15], v[16:17]
	v_accvgpr_read_b32 v16, a104
	v_accvgpr_read_b32 v19, a91
	v_mul_f64 v[194:195], v[236:237], s[26:27]
	v_mul_f64 v[182:183], v[236:237], s[2:3]
	v_add_f64 v[184:185], v[184:185], -v[146:147]
	v_mul_f64 v[168:169], v[236:237], s[24:25]
	v_mul_f64 v[236:237], v[240:241], s[14:15]
	v_add_f64 v[146:147], v[56:57], v[144:145]
	v_add_f64 v[56:57], v[200:201], -v[166:167]
	v_add_f64 v[22:23], v[104:105], v[22:23]
	v_accvgpr_read_b32 v17, a105
	v_add_f64 v[18:19], v[18:19], -v[204:205]
	v_add_f64 v[78:79], v[78:79], -v[224:225]
	v_add_f64 v[22:23], v[56:57], v[22:23]
	v_add_f64 v[20:21], v[20:21], v[236:237]
	v_add_f64 v[16:17], v[16:17], -v[206:207]
	v_add_f64 v[18:19], v[104:105], v[18:19]
	v_add_f64 v[22:23], v[78:79], v[22:23]
	;; [unrolled: 1-line block ×5, first 2 shown]
	v_accvgpr_read_b32 v18, a86
	v_accvgpr_read_b32 v20, a94
	v_add_f64 v[22:23], v[86:87], v[22:23]
	v_add_f64 v[4:5], v[4:5], v[10:11]
	v_add_f64 v[10:11], v[118:119], -v[242:243]
	v_accvgpr_read_b32 v19, a87
	v_accvgpr_read_b32 v21, a95
	v_add_f64 v[144:145], v[184:185], v[22:23]
	v_add_f64 v[10:11], v[10:11], v[12:13]
	;; [unrolled: 1-line block ×4, first 2 shown]
	v_accvgpr_read_b32 v20, a82
	v_accvgpr_read_b32 v22, a100
	v_add_f64 v[12:13], v[12:13], v[14:15]
	v_add_f64 v[14:15], v[110:111], -v[208:209]
	v_accvgpr_read_b32 v21, a83
	v_accvgpr_read_b32 v23, a101
	v_add_f64 v[14:15], v[14:15], v[16:17]
	v_accvgpr_read_b32 v16, a102
	v_add_f64 v[20:21], v[22:23], v[20:21]
	;; [unrolled: 2-line block ×3, first 2 shown]
	v_add_f64 v[16:17], v[174:175], v[16:17]
	v_add_f64 v[18:19], v[18:19], v[20:21]
	v_mul_f64 v[224:225], v[240:241], s[24:25]
	v_add_f64 v[2:3], v[254:255], v[214:215]
	v_add_f64 v[16:17], v[16:17], v[18:19]
	v_accvgpr_read_b32 v18, a84
	v_accvgpr_read_b32 v20, a88
	v_add_f64 v[0:1], v[0:1], v[224:225]
	v_add_f64 v[2:3], v[2:3], v[4:5]
	v_add_f64 v[4:5], v[226:227], -v[248:249]
	v_accvgpr_read_b32 v19, a85
	v_accvgpr_read_b32 v21, a89
	v_accvgpr_write_b32 a28, v84
	v_accvgpr_write_b32 a29, v85
	v_mul_f64 v[84:85], v[240:241], s[2:3]
	v_add_f64 v[2:3], v[0:1], v[2:3]
	v_add_f64 v[0:1], v[168:169], -v[250:251]
	v_add_f64 v[4:5], v[4:5], v[10:11]
	v_add_f64 v[10:11], v[222:223], v[82:83]
	v_add_f64 v[18:19], v[18:19], -v[20:21]
	v_accvgpr_read_b32 v20, a80
	v_accvgpr_read_b32 v22, a96
	v_add_f64 v[0:1], v[0:1], v[4:5]
	v_add_f64 v[4:5], v[230:231], v[84:85]
	;; [unrolled: 1-line block ×3, first 2 shown]
	v_accvgpr_read_b32 v21, a81
	v_accvgpr_read_b32 v23, a97
	v_add_f64 v[12:13], v[4:5], v[10:11]
	v_add_f64 v[10:11], v[80:81], -v[216:217]
	v_add_f64 v[20:21], v[20:21], -v[22:23]
	v_accvgpr_read_b32 v22, a74
	v_accvgpr_read_b32 v56, a92
	v_mul_f64 v[180:181], v[240:241], s[26:27]
	v_add_f64 v[4:5], v[182:183], -v[220:221]
	v_add_f64 v[10:11], v[10:11], v[14:15]
	v_add_f64 v[14:15], v[190:191], v[112:113]
	v_accvgpr_read_b32 v23, a75
	v_accvgpr_read_b32 v57, a93
	v_add_f64 v[10:11], v[4:5], v[10:11]
	v_add_f64 v[4:5], v[198:199], v[180:181]
	;; [unrolled: 1-line block ×3, first 2 shown]
	v_add_f64 v[22:23], v[22:23], -v[56:57]
	v_add_f64 v[16:17], v[4:5], v[14:15]
	v_accvgpr_read_b32 v14, a98
	v_add_f64 v[22:23], v[104:105], v[22:23]
	v_accvgpr_read_b32 v15, a99
	v_add_f64 v[20:21], v[20:21], v[22:23]
	v_add_f64 v[14:15], v[14:15], -v[188:189]
	v_add_f64 v[18:19], v[18:19], v[20:21]
	v_add_f64 v[4:5], v[194:195], -v[196:197]
	v_add_f64 v[14:15], v[14:15], v[18:19]
	v_add_f64 v[14:15], v[4:5], v[14:15]
	;; [unrolled: 1-line block ×12, first 2 shown]
	v_accvgpr_read_b32 v4, a58
	v_accvgpr_read_b32 v5, a59
	;; [unrolled: 1-line block ×3, first 2 shown]
	v_add_f64 v[4:5], v[104:105], v[4:5]
	v_accvgpr_read_b32 v19, a61
	v_add_f64 v[4:5], v[4:5], v[18:19]
	v_accvgpr_read_b32 v18, a66
	v_accvgpr_read_b32 v19, a67
	v_add_f64 v[4:5], v[4:5], v[18:19]
	v_accvgpr_read_b32 v18, a62
	;; [unrolled: 3-line block ×8, first 2 shown]
	v_accvgpr_read_b32 v179, a1
	v_accvgpr_read_b32 v19, a79
	;; [unrolled: 1-line block ×3, first 2 shown]
	v_add_f64 v[18:19], v[4:5], v[18:19]
	v_mul_u32_u24_e32 v4, 0x1ce, v179
	v_accvgpr_read_b32 v87, a31
	v_accvgpr_read_b32 v86, a30
	;; [unrolled: 1-line block ×6, first 2 shown]
	v_add_lshl_u32 v4, v4, v187, 4
	ds_write_b128 v4, v[18:21]
	ds_write_b128 v4, v[14:17] offset:672
	ds_write_b128 v4, v[10:13] offset:1344
	;; [unrolled: 1-line block ×10, first 2 shown]
.LBB0_9:
	s_or_b64 exec, exec, s[18:19]
	v_lshlrev_b32_e32 v0, 4, v178
	v_mov_b32_e32 v1, 0
	v_lshl_add_u64 v[140:141], s[8:9], 0, v[0:1]
	v_lshlrev_b32_e32 v0, 4, v171
	v_lshl_add_u64 v[2:3], s[10:11], 0, v[0:1]
	s_mov_b64 s[8:9], 0x1cc0
	s_movk_i32 s14, 0x1000
	v_lshl_add_u64 v[4:5], v[2:3], 0, s[8:9]
	v_add_co_u32_e64 v2, s[2:3], s14, v2
	v_mov_b32_e32 v171, v1
	s_nop 0
	v_addc_co_u32_e64 v3, s[2:3], 0, v3, s[2:3]
	v_lshl_add_u64 v[0:1], s[10:11], 0, v[170:171]
	s_waitcnt lgkmcnt(0)
	s_barrier
	global_load_dwordx4 v[104:107], v[2:3], off offset:3264
	global_load_dwordx4 v[108:111], v[4:5], off offset:16
	v_add_co_u32_e64 v2, s[2:3], s14, v0
	s_nop 1
	v_addc_co_u32_e64 v3, s[2:3], 0, v1, s[2:3]
	v_lshl_add_u64 v[0:1], v[0:1], 0, s[8:9]
	global_load_dwordx4 v[112:115], v[2:3], off offset:3264
	global_load_dwordx4 v[116:119], v[0:1], off offset:16
	ds_read_b128 v[0:3], v164
	ds_read_b128 v[4:7], v164 offset:3696
	ds_read_b128 v[8:11], v164 offset:7392
	;; [unrolled: 1-line block ×5, first 2 shown]
	s_mov_b32 s2, 0xe8584caa
	s_mov_b32 s3, 0x3febb67a
	;; [unrolled: 1-line block ×4, first 2 shown]
	s_waitcnt vmcnt(3) lgkmcnt(3)
	v_mul_f64 v[56:57], v[10:11], v[106:107]
	v_mul_f64 v[58:59], v[8:9], v[106:107]
	s_waitcnt vmcnt(2) lgkmcnt(1)
	v_mul_f64 v[68:69], v[18:19], v[110:111]
	v_mul_f64 v[70:71], v[16:17], v[110:111]
	v_fma_f64 v[8:9], v[8:9], v[104:105], -v[56:57]
	v_fmac_f64_e32 v[58:59], v[10:11], v[104:105]
	v_fma_f64 v[10:11], v[16:17], v[108:109], -v[68:69]
	v_fmac_f64_e32 v[70:71], v[18:19], v[108:109]
	s_waitcnt vmcnt(1)
	v_mul_f64 v[72:73], v[14:15], v[114:115]
	v_mul_f64 v[74:75], v[12:13], v[114:115]
	s_waitcnt vmcnt(0) lgkmcnt(0)
	v_mul_f64 v[76:77], v[22:23], v[118:119]
	v_mul_f64 v[78:79], v[20:21], v[118:119]
	v_fma_f64 v[12:13], v[12:13], v[112:113], -v[72:73]
	v_fmac_f64_e32 v[74:75], v[14:15], v[112:113]
	v_fma_f64 v[14:15], v[20:21], v[116:117], -v[76:77]
	v_fmac_f64_e32 v[78:79], v[22:23], v[116:117]
	v_add_f64 v[18:19], v[8:9], v[10:11]
	v_add_f64 v[56:57], v[58:59], v[70:71]
	;; [unrolled: 1-line block ×3, first 2 shown]
	v_add_f64 v[76:77], v[74:75], -v[78:79]
	v_add_f64 v[80:81], v[6:7], v[74:75]
	v_add_f64 v[74:75], v[74:75], v[78:79]
	;; [unrolled: 1-line block ×3, first 2 shown]
	v_add_f64 v[20:21], v[58:59], -v[70:71]
	v_add_f64 v[22:23], v[2:3], v[58:59]
	v_add_f64 v[58:59], v[8:9], -v[10:11]
	v_add_f64 v[68:69], v[4:5], v[12:13]
	v_add_f64 v[82:83], v[12:13], -v[14:15]
	v_fmac_f64_e32 v[0:1], -0.5, v[18:19]
	v_fmac_f64_e32 v[2:3], -0.5, v[56:57]
	;; [unrolled: 1-line block ×4, first 2 shown]
	v_add_f64 v[8:9], v[16:17], v[10:11]
	v_add_f64 v[10:11], v[22:23], v[70:71]
	v_fma_f64 v[16:17], s[2:3], v[20:21], v[0:1]
	v_fmac_f64_e32 v[0:1], s[8:9], v[20:21]
	v_fma_f64 v[18:19], s[8:9], v[58:59], v[2:3]
	v_fmac_f64_e32 v[2:3], s[2:3], v[58:59]
	;; [unrolled: 2-line block ×4, first 2 shown]
	s_mov_b64 s[2:3], 0x56a0
	v_add_f64 v[12:13], v[68:69], v[14:15]
	v_add_f64 v[14:15], v[80:81], v[78:79]
	ds_write_b128 v164, v[8:11]
	ds_write_b128 v164, v[12:15] offset:3696
	ds_write_b128 v164, v[16:19] offset:7392
	;; [unrolled: 1-line block ×5, first 2 shown]
	v_lshl_add_u64 v[4:5], v[140:141], 0, s[2:3]
	s_movk_i32 s2, 0x5000
	v_add_co_u32_e64 v0, s[2:3], s2, v140
	s_waitcnt lgkmcnt(0)
	s_nop 0
	v_addc_co_u32_e64 v1, s[2:3], 0, v141, s[2:3]
	s_mov_b32 s2, 0x8000
	s_nop 0
	v_add_co_u32_e64 v8, s[2:3], s2, v140
	s_barrier
	s_nop 0
	v_addc_co_u32_e64 v9, s[2:3], 0, v141, s[2:3]
	s_mov_b32 s2, 0x9000
	s_nop 0
	v_add_co_u32_e64 v20, s[2:3], s2, v140
	s_nop 1
	v_addc_co_u32_e64 v21, s[2:3], 0, v141, s[2:3]
	s_movk_i32 s2, 0x7000
	s_nop 0
	v_add_co_u32_e64 v16, s[2:3], s2, v140
	global_load_dwordx4 v[0:3], v[0:1], off offset:1696
	s_nop 0
	global_load_dwordx4 v[4:7], v[4:5], off offset:3696
	v_addc_co_u32_e64 v17, s[2:3], 0, v141, s[2:3]
	global_load_dwordx4 v[8:11], v[8:9], off offset:496
	s_nop 0
	global_load_dwordx4 v[12:15], v[20:21], off offset:96
	s_nop 0
	;; [unrolled: 2-line block ×3, first 2 shown]
	global_load_dwordx4 v[20:23], v[20:21], off offset:3792
	ds_read_b128 v[140:143], v164
	ds_read_b128 v[144:147], v164 offset:3696
	ds_read_b128 v[148:151], v164 offset:11088
	;; [unrolled: 1-line block ×5, first 2 shown]
	s_waitcnt vmcnt(5) lgkmcnt(5)
	v_mul_f64 v[56:57], v[142:143], v[2:3]
	v_mul_f64 v[168:169], v[140:141], v[2:3]
	s_waitcnt vmcnt(4) lgkmcnt(4)
	v_mul_f64 v[68:69], v[146:147], v[6:7]
	s_waitcnt vmcnt(3) lgkmcnt(3)
	v_mul_f64 v[58:59], v[150:151], v[10:11]
	v_mul_f64 v[2:3], v[148:149], v[10:11]
	v_mul_f64 v[10:11], v[144:145], v[6:7]
	s_waitcnt vmcnt(2) lgkmcnt(1)
	v_mul_f64 v[70:71], v[158:159], v[14:15]
	v_mul_f64 v[6:7], v[156:157], v[14:15]
	s_waitcnt vmcnt(1)
	v_mul_f64 v[72:73], v[154:155], v[18:19]
	v_mul_f64 v[14:15], v[152:153], v[18:19]
	s_waitcnt vmcnt(0) lgkmcnt(0)
	v_mul_f64 v[74:75], v[162:163], v[22:23]
	v_mul_f64 v[18:19], v[160:161], v[22:23]
	v_fma_f64 v[166:167], v[140:141], v[0:1], -v[56:57]
	v_fmac_f64_e32 v[168:169], v[142:143], v[0:1]
	v_fma_f64 v[0:1], v[148:149], v[8:9], -v[58:59]
	v_fmac_f64_e32 v[2:3], v[150:151], v[8:9]
	;; [unrolled: 2-line block ×6, first 2 shown]
	ds_write_b128 v164, v[166:169]
	ds_write_b128 v164, v[0:3] offset:11088
	ds_write_b128 v164, v[8:11] offset:3696
	;; [unrolled: 1-line block ×5, first 2 shown]
	s_waitcnt lgkmcnt(0)
	s_barrier
	ds_read_b128 v[0:3], v164
	ds_read_b128 v[4:7], v164 offset:3696
	ds_read_b128 v[8:11], v164 offset:11088
	;; [unrolled: 1-line block ×5, first 2 shown]
	s_waitcnt lgkmcnt(0)
	v_add_f64 v[144:145], v[0:1], -v[8:9]
	v_add_f64 v[146:147], v[2:3], -v[10:11]
	;; [unrolled: 1-line block ×6, first 2 shown]
	v_fma_f64 v[140:141], v[0:1], 2.0, -v[144:145]
	v_fma_f64 v[142:143], v[2:3], 2.0, -v[146:147]
	;; [unrolled: 1-line block ×6, first 2 shown]
	s_barrier
	ds_write_b128 v85, v[140:143]
	ds_write_b128 v85, v[144:147] offset:16
	ds_write_b128 v170, v[152:155]
	ds_write_b128 v170, v[148:151] offset:16
	;; [unrolled: 2-line block ×3, first 2 shown]
	s_waitcnt lgkmcnt(0)
	s_barrier
	s_and_saveexec_b64 s[2:3], vcc
	s_cbranch_execz .LBB0_11
; %bb.10:
	ds_read_b128 v[140:143], v164
	ds_read_b128 v[144:147], v164 offset:3168
	ds_read_b128 v[152:155], v164 offset:6336
	;; [unrolled: 1-line block ×6, first 2 shown]
.LBB0_11:
	s_or_b64 exec, exec, s[2:3]
	s_waitcnt lgkmcnt(5)
	v_mul_f64 v[0:1], v[38:39], v[144:145]
	v_fma_f64 v[4:5], v[36:37], v[146:147], -v[0:1]
	s_waitcnt lgkmcnt(4)
	v_mul_f64 v[0:1], v[34:35], v[152:153]
	v_fma_f64 v[16:17], v[32:33], v[154:155], -v[0:1]
	;; [unrolled: 3-line block ×3, first 2 shown]
	s_waitcnt lgkmcnt(2)
	v_mul_f64 v[22:23], v[26:27], v[162:163]
	v_mul_f64 v[0:1], v[26:27], v[160:161]
	v_fmac_f64_e32 v[22:23], v[24:25], v[160:161]
	v_fma_f64 v[24:25], v[24:25], v[162:163], -v[0:1]
	s_waitcnt lgkmcnt(1)
	v_mul_f64 v[0:1], v[46:47], v[156:157]
	v_mul_f64 v[2:3], v[38:39], v[146:147]
	;; [unrolled: 1-line block ×5, first 2 shown]
	v_fma_f64 v[26:27], v[44:45], v[158:159], -v[0:1]
	s_waitcnt lgkmcnt(0)
	v_mul_f64 v[10:11], v[42:43], v[138:139]
	v_mul_f64 v[0:1], v[42:43], v[136:137]
	v_fmac_f64_e32 v[2:3], v[36:37], v[144:145]
	v_fmac_f64_e32 v[6:7], v[32:33], v[152:153]
	;; [unrolled: 1-line block ×5, first 2 shown]
	v_fma_f64 v[28:29], v[40:41], v[138:139], -v[0:1]
	v_add_f64 v[0:1], v[2:3], v[10:11]
	v_add_f64 v[8:9], v[4:5], v[28:29]
	v_add_f64 v[12:13], v[2:3], -v[10:11]
	v_add_f64 v[2:3], v[4:5], -v[28:29]
	v_add_f64 v[4:5], v[6:7], v[14:15]
	v_add_f64 v[10:11], v[16:17], v[26:27]
	v_add_f64 v[14:15], v[6:7], -v[14:15]
	v_add_f64 v[6:7], v[16:17], -v[26:27]
	;; [unrolled: 4-line block ×3, first 2 shown]
	s_mov_b32 s2, 0x37e14327
	v_add_f64 v[28:29], v[0:1], -v[16:17]
	v_add_f64 v[30:31], v[8:9], -v[26:27]
	v_add_f64 v[32:33], v[18:19], v[14:15]
	v_add_f64 v[42:43], v[20:21], v[6:7]
	s_mov_b32 s3, 0x3fe948f6
	v_add_f64 v[46:47], v[32:33], v[12:13]
	v_add_f64 v[56:57], v[42:43], v[2:3]
	v_mul_f64 v[32:33], v[28:29], s[2:3]
	v_mul_f64 v[42:43], v[30:31], s[2:3]
	s_mov_b32 s2, 0xb247c609
	v_add_f64 v[22:23], v[4:5], v[0:1]
	v_add_f64 v[24:25], v[10:11], v[8:9]
	v_add_f64 v[38:39], v[18:19], -v[14:15]
	v_add_f64 v[40:41], v[20:21], -v[6:7]
	;; [unrolled: 1-line block ×4, first 2 shown]
	s_mov_b32 s3, 0xbfd5d0dc
	v_add_f64 v[34:35], v[16:17], -v[4:5]
	v_add_f64 v[16:17], v[16:17], v[22:23]
	v_add_f64 v[22:23], v[26:27], v[24:25]
	s_mov_b32 s10, 0x36b3c0b5
	v_mul_f64 v[138:139], v[18:19], s[2:3]
	v_mul_f64 v[58:59], v[20:21], s[2:3]
	s_mov_b32 s14, 0xe976ee23
	s_mov_b32 s2, 0xaaaaaaaa
	v_add_f64 v[36:37], v[26:27], -v[10:11]
	v_add_f64 v[24:25], v[140:141], v[16:17]
	v_add_f64 v[26:27], v[142:143], v[22:23]
	s_mov_b32 s11, 0x3fac98ee
	s_mov_b32 s8, 0x37c3f68c
	;; [unrolled: 1-line block ×5, first 2 shown]
	v_fma_f64 v[44:45], s[2:3], v[16:17], v[24:25]
	v_fma_f64 v[136:137], s[2:3], v[22:23], v[26:27]
	;; [unrolled: 1-line block ×6, first 2 shown]
	v_add_f64 v[18:19], v[18:19], v[44:45]
	v_add_f64 v[22:23], v[22:23], v[136:137]
	v_fmac_f64_e32 v[20:21], s[8:9], v[46:47]
	v_fmac_f64_e32 v[16:17], s[8:9], v[56:57]
	v_add_f64 v[28:29], v[18:19], -v[16:17]
	v_add_f64 v[30:31], v[20:21], v[22:23]
	s_barrier
	s_and_saveexec_b64 s[2:3], vcc
	s_cbranch_execz .LBB0_13
; %bb.12:
	v_mul_f64 v[34:35], v[34:35], s[10:11]
	v_mul_f64 v[36:37], v[36:37], s[10:11]
	s_mov_b32 s11, 0xbfe77f67
	s_mov_b32 s10, 0x5476071b
	v_add_f64 v[0:1], v[4:5], -v[0:1]
	v_mul_f64 v[46:47], v[46:47], s[8:9]
	v_mul_f64 v[56:57], v[56:57], s[8:9]
	s_mov_b32 s9, 0x3febfeb5
	s_mov_b32 s8, 0x429ad128
	v_add_f64 v[10:11], v[10:11], -v[8:9]
	v_fma_f64 v[4:5], v[0:1], s[10:11], -v[32:33]
	v_add_f64 v[32:33], v[6:7], -v[2:3]
	v_add_f64 v[12:13], v[14:15], -v[12:13]
	v_fma_f64 v[8:9], v[10:11], s[10:11], -v[42:43]
	v_fma_f64 v[2:3], v[32:33], s[8:9], -v[58:59]
	s_mov_b32 s11, 0x3fe77f67
	v_mul_f64 v[38:39], v[38:39], s[14:15]
	v_mul_f64 v[40:41], v[40:41], s[14:15]
	v_fma_f64 v[14:15], v[12:13], s[8:9], -v[138:139]
	v_add_f64 v[58:59], v[56:57], v[2:3]
	v_fma_f64 v[2:3], v[10:11], s[10:11], -v[36:37]
	s_mov_b32 s9, 0xbfebfeb5
	v_fma_f64 v[0:1], v[0:1], s[10:11], -v[34:35]
	v_add_f64 v[10:11], v[2:3], v[136:137]
	v_fma_f64 v[2:3], v[12:13], s[8:9], -v[38:39]
	v_add_f64 v[34:35], v[0:1], v[44:45]
	;; [unrolled: 2-line block ×3, first 2 shown]
	v_add_f64 v[12:13], v[46:47], v[2:3]
	v_add_f64 v[32:33], v[56:57], v[0:1]
	v_add_f64 v[6:7], v[4:5], -v[58:59]
	v_add_f64 v[2:3], v[10:11], -v[12:13]
	v_add_f64 v[0:1], v[32:33], v[34:35]
	v_add_f64 v[12:13], v[12:13], v[10:11]
	v_add_f64 v[10:11], v[34:35], -v[32:33]
	v_add_f64 v[32:33], v[58:59], v[4:5]
	v_mul_u32_u24_e32 v4, 14, v86
	v_or_b32_e32 v4, v4, v84
	v_add_f64 v[14:15], v[46:47], v[14:15]
	v_add_f64 v[42:43], v[8:9], v[136:137]
	v_lshlrev_b32_e32 v4, 4, v4
	v_add_f64 v[8:9], v[14:15], v[42:43]
	v_add_f64 v[34:35], v[42:43], -v[14:15]
	v_add_f64 v[20:21], v[22:23], -v[20:21]
	v_add_f64 v[18:19], v[16:17], v[18:19]
	ds_write_b128 v4, v[24:27]
	ds_write_b128 v4, v[18:21] offset:32
	ds_write_b128 v4, v[32:35] offset:64
	;; [unrolled: 1-line block ×6, first 2 shown]
.LBB0_13:
	s_or_b64 exec, exec, s[2:3]
	s_waitcnt lgkmcnt(0)
	s_barrier
	ds_read_b128 v[0:3], v164 offset:7392
	ds_read_b128 v[32:35], v164
	ds_read_b128 v[40:43], v164 offset:3696
	ds_read_b128 v[4:7], v164 offset:11088
	;; [unrolled: 1-line block ×4, first 2 shown]
	s_waitcnt lgkmcnt(5)
	v_mul_f64 v[16:17], v[66:67], v[2:3]
	v_fmac_f64_e32 v[16:17], v[64:65], v[0:1]
	v_mul_f64 v[0:1], v[66:67], v[0:1]
	v_fma_f64 v[0:1], v[64:65], v[2:3], -v[0:1]
	s_waitcnt lgkmcnt(1)
	v_mul_f64 v[2:3], v[62:63], v[10:11]
	v_fmac_f64_e32 v[2:3], v[60:61], v[8:9]
	v_mul_f64 v[8:9], v[62:63], v[8:9]
	v_fma_f64 v[8:9], v[60:61], v[10:11], -v[8:9]
	v_mul_f64 v[10:11], v[54:55], v[6:7]
	v_fmac_f64_e32 v[10:11], v[52:53], v[4:5]
	v_mul_f64 v[4:5], v[54:55], v[4:5]
	v_fma_f64 v[4:5], v[52:53], v[6:7], -v[4:5]
	s_waitcnt lgkmcnt(0)
	v_mul_f64 v[6:7], v[50:51], v[14:15]
	v_fmac_f64_e32 v[6:7], v[48:49], v[12:13]
	v_mul_f64 v[12:13], v[50:51], v[12:13]
	v_fma_f64 v[12:13], v[48:49], v[14:15], -v[12:13]
	v_add_f64 v[14:15], v[32:33], v[16:17]
	v_add_f64 v[24:25], v[14:15], v[2:3]
	;; [unrolled: 1-line block ×3, first 2 shown]
	s_mov_b32 s2, 0xe8584caa
	v_fmac_f64_e32 v[32:33], -0.5, v[14:15]
	v_add_f64 v[14:15], v[0:1], -v[8:9]
	s_mov_b32 s3, 0xbfebb67a
	s_mov_b32 s9, 0x3febb67a
	;; [unrolled: 1-line block ×3, first 2 shown]
	v_fma_f64 v[36:37], s[2:3], v[14:15], v[32:33]
	v_fmac_f64_e32 v[32:33], s[8:9], v[14:15]
	v_add_f64 v[14:15], v[34:35], v[0:1]
	v_add_f64 v[0:1], v[0:1], v[8:9]
	v_fmac_f64_e32 v[34:35], -0.5, v[0:1]
	v_add_f64 v[0:1], v[16:17], -v[2:3]
	v_fma_f64 v[38:39], s[8:9], v[0:1], v[34:35]
	v_fmac_f64_e32 v[34:35], s[2:3], v[0:1]
	v_add_f64 v[0:1], v[40:41], v[10:11]
	v_add_f64 v[44:45], v[0:1], v[6:7]
	;; [unrolled: 1-line block ×3, first 2 shown]
	v_fmac_f64_e32 v[40:41], -0.5, v[0:1]
	v_add_f64 v[0:1], v[4:5], -v[12:13]
	v_fma_f64 v[48:49], s[2:3], v[0:1], v[40:41]
	v_fmac_f64_e32 v[40:41], s[8:9], v[0:1]
	v_add_f64 v[0:1], v[42:43], v[4:5]
	v_add_f64 v[46:47], v[0:1], v[12:13]
	;; [unrolled: 1-line block ×3, first 2 shown]
	v_fmac_f64_e32 v[42:43], -0.5, v[0:1]
	v_add_f64 v[0:1], v[10:11], -v[6:7]
	v_add_f64 v[26:27], v[14:15], v[8:9]
	v_fma_f64 v[50:51], s[8:9], v[0:1], v[42:43]
	v_fmac_f64_e32 v[42:43], s[2:3], v[0:1]
	v_accvgpr_read_b32 v0, a44
	s_barrier
	ds_write_b128 v0, v[24:27]
	ds_write_b128 v0, v[36:39] offset:224
	ds_write_b128 v0, v[32:35] offset:448
	ds_write_b128 v87, v[44:47]
	ds_write_b128 v87, v[48:51] offset:224
	ds_write_b128 v87, v[40:43] offset:448
	s_waitcnt lgkmcnt(0)
	s_barrier
	s_and_saveexec_b64 s[2:3], s[0:1]
	s_cbranch_execz .LBB0_15
; %bb.14:
	ds_read_b128 v[24:27], v164
	ds_read_b128 v[36:39], v164 offset:2016
	ds_read_b128 v[32:35], v164 offset:4032
	;; [unrolled: 1-line block ×10, first 2 shown]
.LBB0_15:
	s_or_b64 exec, exec, s[2:3]
	s_waitcnt lgkmcnt(0)
	s_barrier
	s_and_saveexec_b64 s[2:3], s[0:1]
	s_cbranch_execz .LBB0_17
; %bb.16:
	v_accvgpr_read_b32 v8, a46
	v_accvgpr_read_b32 v12, a40
	;; [unrolled: 1-line block ×7, first 2 shown]
	v_mul_f64 v[2:3], v[102:103], v[40:41]
	v_accvgpr_read_b32 v9, a47
	v_mul_f64 v[60:61], v[10:11], v[50:51]
	v_mul_f64 v[6:7], v[10:11], v[48:49]
	v_accvgpr_read_b32 v13, a41
	v_accvgpr_read_b32 v18, a56
	;; [unrolled: 1-line block ×3, first 2 shown]
	v_mul_f64 v[10:11], v[14:15], v[44:45]
	v_mul_f64 v[54:55], v[98:99], v[30:31]
	v_fma_f64 v[64:65], v[100:101], v[42:43], -v[2:3]
	v_mul_f64 v[2:3], v[98:99], v[28:29]
	v_fmac_f64_e32 v[60:61], v[8:9], v[48:49]
	v_accvgpr_read_b32 v17, a55
	v_mul_f64 v[48:49], v[18:19], v[130:131]
	v_fma_f64 v[74:75], v[12:13], v[46:47], -v[10:11]
	v_mul_f64 v[10:11], v[18:19], v[128:129]
	v_fmac_f64_e32 v[54:55], v[96:97], v[28:29]
	v_fma_f64 v[66:67], v[96:97], v[30:31], -v[2:3]
	v_mul_f64 v[76:77], v[14:15], v[46:47]
	v_fmac_f64_e32 v[48:49], v[16:17], v[128:129]
	v_fma_f64 v[46:47], v[16:17], v[130:131], -v[10:11]
	v_accvgpr_read_b32 v16, a36
	v_accvgpr_read_b32 v20, a32
	;; [unrolled: 1-line block ×10, first 2 shown]
	v_mul_f64 v[72:73], v[18:19], v[34:35]
	v_mul_f64 v[14:15], v[18:19], v[32:33]
	v_accvgpr_read_b32 v21, a33
	v_mul_f64 v[84:85], v[22:23], v[38:39]
	v_accvgpr_read_b32 v29, a51
	v_mul_f64 v[68:69], v[30:31], v[122:123]
	v_mul_f64 v[18:19], v[22:23], v[36:37]
	v_fmac_f64_e32 v[76:77], v[12:13], v[44:45]
	v_mul_f64 v[44:45], v[90:91], v[126:127]
	v_fma_f64 v[86:87], v[16:17], v[34:35], -v[14:15]
	v_mul_f64 v[14:15], v[90:91], v[124:125]
	v_fmac_f64_e32 v[84:85], v[20:21], v[36:37]
	v_fmac_f64_e32 v[68:69], v[28:29], v[120:121]
	s_mov_b32 s24, 0xfd768dbf
	v_fma_f64 v[58:59], v[20:21], v[38:39], -v[18:19]
	v_mul_f64 v[18:19], v[30:31], v[120:121]
	v_fmac_f64_e32 v[72:73], v[16:17], v[32:33]
	v_fmac_f64_e32 v[44:45], v[88:89], v[124:125]
	s_mov_b32 s26, 0xf8bb580b
	v_fma_f64 v[70:71], v[88:89], v[126:127], -v[14:15]
	v_add_f64 v[126:127], v[84:85], -v[68:69]
	s_mov_b32 s25, 0xbfd207e7
	v_fma_f64 v[56:57], v[28:29], v[122:123], -v[18:19]
	s_mov_b32 s22, 0x9bcd5057
	v_mul_f64 v[52:53], v[102:103], v[42:43]
	v_mul_f64 v[62:63], v[94:95], v[134:135]
	s_mov_b32 s20, 0xbb3a28a1
	v_add_f64 v[102:103], v[72:73], -v[44:45]
	s_mov_b32 s27, 0x3fe14ced
	s_mov_b32 s18, 0x8764f0ba
	v_mul_f64 v[16:17], v[126:127], s[24:25]
	v_add_f64 v[80:81], v[58:59], v[56:57]
	s_mov_b32 s23, 0xbfeeb42a
	v_fmac_f64_e32 v[52:53], v[100:101], v[40:41]
	v_fmac_f64_e32 v[62:63], v[92:93], v[132:133]
	v_fma_f64 v[78:79], v[8:9], v[50:51], -v[6:7]
	v_mul_f64 v[6:7], v[94:95], v[132:133]
	v_add_f64 v[100:101], v[76:77], -v[48:49]
	s_mov_b32 s21, 0xbfe82f19
	s_mov_b32 s16, 0x7f775887
	v_mul_f64 v[12:13], v[102:103], s[26:27]
	v_add_f64 v[88:89], v[86:87], v[70:71]
	s_mov_b32 s19, 0x3feaeb8c
	v_fma_f64 v[18:19], s[22:23], v[80:81], v[16:17]
	v_add_f64 v[138:139], v[58:59], -v[56:57]
	s_mov_b32 s8, 0x43842ef
	v_add_f64 v[98:99], v[60:61], -v[62:63]
	s_mov_b32 s15, 0x3fed1bb4
	s_mov_b32 s14, 0x8eee2c13
	v_fma_f64 v[50:51], v[92:93], v[134:135], -v[6:7]
	s_mov_b32 s10, 0xd9c712b6
	v_mul_f64 v[8:9], v[100:101], s[20:21]
	v_add_f64 v[94:95], v[74:75], v[46:47]
	s_mov_b32 s17, 0xbfe4f49e
	v_fma_f64 v[14:15], s[18:19], v[88:89], v[12:13]
	v_add_f64 v[18:19], v[26:27], v[18:19]
	v_add_f64 v[134:135], v[86:87], -v[70:71]
	v_add_f64 v[124:125], v[84:85], v[68:69]
	v_mul_f64 v[32:33], v[138:139], s[24:25]
	v_add_f64 v[136:137], v[52:53], -v[54:55]
	s_mov_b32 s9, 0xbfefac9e
	s_mov_b32 s0, 0x640f44db
	v_mul_f64 v[4:5], v[98:99], s[14:15]
	v_add_f64 v[92:93], v[78:79], v[50:51]
	s_mov_b32 s11, 0x3fda9628
	v_fma_f64 v[10:11], s[16:17], v[94:95], v[8:9]
	v_add_f64 v[14:15], v[14:15], v[18:19]
	v_add_f64 v[132:133], v[74:75], -v[46:47]
	v_add_f64 v[122:123], v[72:73], v[44:45]
	v_mul_f64 v[22:23], v[134:135], s[26:27]
	v_fma_f64 v[34:35], v[124:125], s[22:23], -v[32:33]
	v_mul_f64 v[0:1], v[136:137], s[8:9]
	v_add_f64 v[96:97], v[64:65], v[66:67]
	s_mov_b32 s1, 0xbfc2375f
	v_fma_f64 v[6:7], s[10:11], v[92:93], v[4:5]
	v_add_f64 v[10:11], v[10:11], v[14:15]
	v_add_f64 v[130:131], v[78:79], -v[50:51]
	v_add_f64 v[120:121], v[76:77], v[48:49]
	v_mul_f64 v[18:19], v[132:133], s[20:21]
	v_fma_f64 v[28:29], v[122:123], s[18:19], -v[22:23]
	v_add_f64 v[34:35], v[24:25], v[34:35]
	v_fma_f64 v[2:3], s[0:1], v[96:97], v[0:1]
	v_add_f64 v[6:7], v[6:7], v[10:11]
	v_add_f64 v[128:129], v[64:65], -v[66:67]
	v_add_f64 v[90:91], v[60:61], v[62:63]
	v_mul_f64 v[10:11], v[130:131], s[14:15]
	v_fma_f64 v[20:21], v[120:121], s[16:17], -v[18:19]
	v_add_f64 v[28:29], v[28:29], v[34:35]
	v_add_f64 v[30:31], v[2:3], v[6:7]
	;; [unrolled: 1-line block ×3, first 2 shown]
	v_mul_f64 v[2:3], v[128:129], s[8:9]
	v_fma_f64 v[14:15], v[90:91], s[10:11], -v[10:11]
	v_add_f64 v[20:21], v[20:21], v[28:29]
	v_fma_f64 v[6:7], v[82:83], s[0:1], -v[2:3]
	v_add_f64 v[14:15], v[14:15], v[20:21]
	v_add_f64 v[28:29], v[6:7], v[14:15]
	v_fma_f64 v[6:7], v[94:95], s[16:17], -v[8:9]
	v_fma_f64 v[8:9], v[88:89], s[18:19], -v[12:13]
	;; [unrolled: 1-line block ×3, first 2 shown]
	v_add_f64 v[12:13], v[26:27], v[12:13]
	v_add_f64 v[8:9], v[8:9], v[12:13]
	v_fma_f64 v[4:5], v[92:93], s[10:11], -v[4:5]
	v_add_f64 v[6:7], v[6:7], v[8:9]
	v_fma_f64 v[0:1], v[96:97], s[0:1], -v[0:1]
	v_add_f64 v[4:5], v[4:5], v[6:7]
	v_fmac_f64_e32 v[32:33], s[22:23], v[124:125]
	v_add_f64 v[34:35], v[0:1], v[4:5]
	v_fmac_f64_e32 v[22:23], s[18:19], v[122:123]
	;; [unrolled: 2-line block ×3, first 2 shown]
	v_add_f64 v[0:1], v[22:23], v[0:1]
	s_mov_b32 s31, 0x3fefac9e
	s_mov_b32 s30, s8
	v_mul_f64 v[16:17], v[126:127], s[20:21]
	v_add_f64 v[0:1], v[18:19], v[0:1]
	s_mov_b32 s29, 0xbfe14ced
	s_mov_b32 s28, s26
	v_mul_f64 v[12:13], v[102:103], s[30:31]
	v_fma_f64 v[18:19], s[16:17], v[80:81], v[16:17]
	v_fmac_f64_e32 v[10:11], s[10:11], v[90:91]
	v_mul_f64 v[8:9], v[100:101], s[28:29]
	v_fma_f64 v[14:15], s[0:1], v[88:89], v[12:13]
	v_add_f64 v[18:19], v[26:27], v[18:19]
	v_mul_f64 v[40:41], v[138:139], s[20:21]
	v_fmac_f64_e32 v[2:3], s[0:1], v[82:83]
	v_add_f64 v[0:1], v[10:11], v[0:1]
	v_mul_f64 v[4:5], v[98:99], s[24:25]
	v_fma_f64 v[10:11], s[18:19], v[94:95], v[8:9]
	v_add_f64 v[14:15], v[14:15], v[18:19]
	v_mul_f64 v[22:23], v[134:135], s[30:31]
	v_fma_f64 v[42:43], v[124:125], s[16:17], -v[40:41]
	v_add_f64 v[32:33], v[2:3], v[0:1]
	v_mul_f64 v[0:1], v[136:137], s[14:15]
	v_fma_f64 v[6:7], s[22:23], v[92:93], v[4:5]
	v_add_f64 v[10:11], v[10:11], v[14:15]
	v_mul_f64 v[18:19], v[132:133], s[28:29]
	v_fma_f64 v[36:37], v[122:123], s[0:1], -v[22:23]
	v_add_f64 v[42:43], v[24:25], v[42:43]
	v_fma_f64 v[2:3], s[10:11], v[96:97], v[0:1]
	v_add_f64 v[6:7], v[6:7], v[10:11]
	v_mul_f64 v[10:11], v[130:131], s[24:25]
	v_fma_f64 v[20:21], v[120:121], s[18:19], -v[18:19]
	v_add_f64 v[36:37], v[36:37], v[42:43]
	v_add_f64 v[38:39], v[2:3], v[6:7]
	v_mul_f64 v[2:3], v[128:129], s[14:15]
	v_fma_f64 v[14:15], v[90:91], s[22:23], -v[10:11]
	v_add_f64 v[20:21], v[20:21], v[36:37]
	v_fma_f64 v[6:7], v[82:83], s[10:11], -v[2:3]
	v_add_f64 v[14:15], v[14:15], v[20:21]
	v_add_f64 v[36:37], v[6:7], v[14:15]
	v_fma_f64 v[6:7], v[94:95], s[18:19], -v[8:9]
	v_fma_f64 v[8:9], v[88:89], s[0:1], -v[12:13]
	;; [unrolled: 1-line block ×3, first 2 shown]
	v_add_f64 v[12:13], v[26:27], v[12:13]
	v_add_f64 v[8:9], v[8:9], v[12:13]
	v_fma_f64 v[4:5], v[92:93], s[22:23], -v[4:5]
	v_add_f64 v[6:7], v[6:7], v[8:9]
	v_fma_f64 v[0:1], v[96:97], s[10:11], -v[0:1]
	v_add_f64 v[4:5], v[4:5], v[6:7]
	v_fmac_f64_e32 v[40:41], s[16:17], v[124:125]
	v_add_f64 v[42:43], v[0:1], v[4:5]
	v_fmac_f64_e32 v[22:23], s[0:1], v[122:123]
	;; [unrolled: 2-line block ×3, first 2 shown]
	v_add_f64 v[0:1], v[22:23], v[0:1]
	s_mov_b32 s34, s24
	v_mul_f64 v[16:17], v[126:127], s[8:9]
	v_add_f64 v[0:1], v[18:19], v[0:1]
	v_mul_f64 v[12:13], v[102:103], s[34:35]
	v_fma_f64 v[18:19], s[0:1], v[80:81], v[16:17]
	v_fma_f64 v[16:17], v[80:81], s[0:1], -v[16:17]
	v_fmac_f64_e32 v[10:11], s[22:23], v[90:91]
	v_mul_f64 v[8:9], v[100:101], s[14:15]
	v_fma_f64 v[14:15], s[22:23], v[88:89], v[12:13]
	v_fma_f64 v[12:13], v[88:89], s[22:23], -v[12:13]
	v_add_f64 v[16:17], v[26:27], v[16:17]
	v_fmac_f64_e32 v[2:3], s[10:11], v[82:83]
	v_add_f64 v[0:1], v[10:11], v[0:1]
	v_mul_f64 v[6:7], v[98:99], s[28:29]
	v_fma_f64 v[10:11], s[10:11], v[94:95], v[8:9]
	v_fma_f64 v[8:9], v[94:95], s[10:11], -v[8:9]
	v_add_f64 v[12:13], v[12:13], v[16:17]
	v_add_f64 v[40:41], v[2:3], v[0:1]
	v_mul_f64 v[4:5], v[136:137], s[20:21]
	v_fma_f64 v[2:3], s[18:19], v[92:93], v[6:7]
	v_mul_f64 v[144:145], v[138:139], s[8:9]
	v_fma_f64 v[6:7], v[92:93], s[18:19], -v[6:7]
	v_add_f64 v[8:9], v[8:9], v[12:13]
	v_fma_f64 v[0:1], s[16:17], v[96:97], v[4:5]
	v_add_f64 v[18:19], v[26:27], v[18:19]
	v_mul_f64 v[140:141], v[134:135], s[34:35]
	v_fma_f64 v[146:147], v[124:125], s[0:1], -v[144:145]
	v_fma_f64 v[4:5], v[96:97], s[16:17], -v[4:5]
	v_add_f64 v[6:7], v[6:7], v[8:9]
	v_fmac_f64_e32 v[144:145], s[0:1], v[124:125]
	v_add_f64 v[14:15], v[14:15], v[18:19]
	v_mul_f64 v[20:21], v[132:133], s[14:15]
	v_fma_f64 v[142:143], v[122:123], s[22:23], -v[140:141]
	v_add_f64 v[146:147], v[24:25], v[146:147]
	v_add_f64 v[6:7], v[4:5], v[6:7]
	v_fmac_f64_e32 v[140:141], s[22:23], v[122:123]
	v_add_f64 v[4:5], v[24:25], v[144:145]
	s_mov_b32 s15, 0xbfed1bb4
	v_add_f64 v[10:11], v[10:11], v[14:15]
	v_mul_f64 v[14:15], v[130:131], s[28:29]
	v_fma_f64 v[22:23], v[120:121], s[10:11], -v[20:21]
	v_add_f64 v[142:143], v[142:143], v[146:147]
	v_fmac_f64_e32 v[20:21], s[10:11], v[120:121]
	v_add_f64 v[4:5], v[140:141], v[4:5]
	v_mul_f64 v[140:141], v[126:127], s[14:15]
	v_add_f64 v[2:3], v[2:3], v[10:11]
	v_mul_f64 v[10:11], v[128:129], s[20:21]
	v_fma_f64 v[18:19], v[90:91], s[18:19], -v[14:15]
	v_add_f64 v[22:23], v[22:23], v[142:143]
	v_add_f64 v[4:5], v[20:21], v[4:5]
	v_mul_f64 v[20:21], v[102:103], s[20:21]
	v_fma_f64 v[142:143], s[10:11], v[80:81], v[140:141]
	v_fma_f64 v[140:141], v[80:81], s[10:11], -v[140:141]
	v_add_f64 v[2:3], v[0:1], v[2:3]
	v_fma_f64 v[0:1], v[82:83], s[16:17], -v[10:11]
	v_add_f64 v[18:19], v[18:19], v[22:23]
	v_fmac_f64_e32 v[14:15], s[18:19], v[90:91]
	v_mul_f64 v[16:17], v[100:101], s[34:35]
	v_fma_f64 v[22:23], s[16:17], v[88:89], v[20:21]
	v_fma_f64 v[20:21], v[88:89], s[16:17], -v[20:21]
	v_add_f64 v[140:141], v[26:27], v[140:141]
	v_add_f64 v[0:1], v[0:1], v[18:19]
	v_fmac_f64_e32 v[10:11], s[16:17], v[82:83]
	v_add_f64 v[4:5], v[14:15], v[4:5]
	v_mul_f64 v[14:15], v[98:99], s[30:31]
	v_fma_f64 v[18:19], s[22:23], v[94:95], v[16:17]
	v_fma_f64 v[16:17], v[94:95], s[22:23], -v[16:17]
	v_add_f64 v[20:21], v[20:21], v[140:141]
	v_add_f64 v[4:5], v[10:11], v[4:5]
	v_mul_f64 v[12:13], v[136:137], s[26:27]
	v_fma_f64 v[10:11], s[0:1], v[92:93], v[14:15]
	v_mul_f64 v[152:153], v[138:139], s[14:15]
	v_fma_f64 v[14:15], v[92:93], s[0:1], -v[14:15]
	v_add_f64 v[16:17], v[16:17], v[20:21]
	v_fma_f64 v[8:9], s[18:19], v[96:97], v[12:13]
	v_add_f64 v[142:143], v[26:27], v[142:143]
	v_mul_f64 v[148:149], v[134:135], s[20:21]
	v_fma_f64 v[154:155], v[124:125], s[10:11], -v[152:153]
	v_fma_f64 v[12:13], v[96:97], s[18:19], -v[12:13]
	v_add_f64 v[14:15], v[14:15], v[16:17]
	v_fmac_f64_e32 v[152:153], s[10:11], v[124:125]
	v_add_f64 v[22:23], v[22:23], v[142:143]
	v_mul_f64 v[144:145], v[132:133], s[34:35]
	v_fma_f64 v[150:151], v[122:123], s[16:17], -v[148:149]
	v_add_f64 v[14:15], v[12:13], v[14:15]
	v_fmac_f64_e32 v[148:149], s[16:17], v[122:123]
	v_add_f64 v[12:13], v[24:25], v[152:153]
	v_add_f64 v[18:19], v[18:19], v[22:23]
	v_mul_f64 v[22:23], v[130:131], s[30:31]
	v_fma_f64 v[146:147], v[120:121], s[22:23], -v[144:145]
	v_fmac_f64_e32 v[144:145], s[22:23], v[120:121]
	v_add_f64 v[12:13], v[148:149], v[12:13]
	v_mul_f64 v[126:127], v[126:127], s[28:29]
	v_add_f64 v[10:11], v[10:11], v[18:19]
	v_mul_f64 v[18:19], v[128:129], s[26:27]
	v_fma_f64 v[142:143], v[90:91], s[0:1], -v[22:23]
	v_add_f64 v[154:155], v[24:25], v[154:155]
	v_fmac_f64_e32 v[22:23], s[0:1], v[90:91]
	v_add_f64 v[12:13], v[144:145], v[12:13]
	v_mul_f64 v[102:103], v[102:103], s[14:15]
	v_fma_f64 v[140:141], s[18:19], v[80:81], v[126:127]
	v_fma_f64 v[80:81], v[80:81], s[18:19], -v[126:127]
	v_add_f64 v[10:11], v[8:9], v[10:11]
	v_fma_f64 v[8:9], v[82:83], s[18:19], -v[18:19]
	v_add_f64 v[150:151], v[150:151], v[154:155]
	v_fmac_f64_e32 v[18:19], s[18:19], v[82:83]
	v_add_f64 v[12:13], v[22:23], v[12:13]
	v_mul_f64 v[20:21], v[136:137], s[24:25]
	v_mul_f64 v[22:23], v[98:99], s[20:21]
	;; [unrolled: 1-line block ×3, first 2 shown]
	v_fma_f64 v[136:137], s[10:11], v[88:89], v[102:103]
	v_fma_f64 v[88:89], v[88:89], s[10:11], -v[102:103]
	v_add_f64 v[80:81], v[26:27], v[80:81]
	v_add_f64 v[146:147], v[146:147], v[150:151]
	;; [unrolled: 1-line block ×3, first 2 shown]
	v_fma_f64 v[18:19], s[16:17], v[92:93], v[22:23]
	v_fma_f64 v[22:23], v[92:93], s[16:17], -v[22:23]
	v_fma_f64 v[92:93], v[94:95], s[0:1], -v[98:99]
	v_add_f64 v[80:81], v[88:89], v[80:81]
	v_add_f64 v[142:143], v[142:143], v[146:147]
	v_mul_f64 v[138:139], v[138:139], s[28:29]
	v_add_f64 v[80:81], v[92:93], v[80:81]
	v_add_f64 v[8:9], v[8:9], v[142:143]
	v_fma_f64 v[16:17], s[22:23], v[96:97], v[20:21]
	v_fma_f64 v[142:143], v[124:125], s[18:19], -v[138:139]
	v_fma_f64 v[20:21], v[96:97], s[22:23], -v[20:21]
	v_add_f64 v[22:23], v[22:23], v[80:81]
	v_fmac_f64_e32 v[138:139], s[18:19], v[124:125]
	v_add_f64 v[140:141], v[26:27], v[140:141]
	v_add_f64 v[142:143], v[24:25], v[142:143]
	;; [unrolled: 1-line block ×14, first 2 shown]
	v_fma_f64 v[100:101], s[0:1], v[94:95], v[98:99]
	v_add_f64 v[136:137], v[136:137], v[140:141]
	v_mul_f64 v[134:135], v[134:135], s[14:15]
	v_add_f64 v[26:27], v[26:27], v[66:67]
	v_add_f64 v[24:25], v[24:25], v[54:55]
	;; [unrolled: 1-line block ×3, first 2 shown]
	v_mul_f64 v[132:133], v[132:133], s[8:9]
	v_fma_f64 v[140:141], v[122:123], s[10:11], -v[134:135]
	v_fmac_f64_e32 v[134:135], s[10:11], v[122:123]
	v_add_f64 v[26:27], v[26:27], v[50:51]
	v_add_f64 v[24:25], v[24:25], v[62:63]
	;; [unrolled: 1-line block ×3, first 2 shown]
	v_mul_f64 v[100:101], v[128:129], s[24:25]
	v_mul_f64 v[128:129], v[130:131], s[20:21]
	v_fma_f64 v[136:137], v[120:121], s[0:1], -v[132:133]
	v_add_f64 v[140:141], v[140:141], v[142:143]
	v_fmac_f64_e32 v[132:133], s[0:1], v[120:121]
	v_add_f64 v[20:21], v[134:135], v[20:21]
	v_add_f64 v[26:27], v[26:27], v[46:47]
	;; [unrolled: 1-line block ×3, first 2 shown]
	v_fma_f64 v[130:131], v[90:91], s[16:17], -v[128:129]
	v_add_f64 v[136:137], v[136:137], v[140:141]
	v_fmac_f64_e32 v[128:129], s[16:17], v[90:91]
	v_add_f64 v[20:21], v[132:133], v[20:21]
	v_add_f64 v[26:27], v[26:27], v[70:71]
	;; [unrolled: 1-line block ×3, first 2 shown]
	v_mul_u32_u24_e32 v44, 0x1ce, v179
	v_add_f64 v[18:19], v[16:17], v[18:19]
	v_fma_f64 v[16:17], v[82:83], s[22:23], -v[100:101]
	v_add_f64 v[130:131], v[130:131], v[136:137]
	v_fmac_f64_e32 v[100:101], s[22:23], v[82:83]
	v_add_f64 v[20:21], v[128:129], v[20:21]
	v_add_f64 v[26:27], v[26:27], v[56:57]
	;; [unrolled: 1-line block ×3, first 2 shown]
	v_add_lshl_u32 v44, v44, v187, 4
	v_add_f64 v[16:17], v[16:17], v[130:131]
	v_add_f64 v[20:21], v[100:101], v[20:21]
	ds_write_b128 v44, v[24:27]
	ds_write_b128 v44, v[20:23] offset:672
	ds_write_b128 v44, v[12:15] offset:1344
	;; [unrolled: 1-line block ×10, first 2 shown]
.LBB0_17:
	s_or_b64 exec, exec, s[2:3]
	s_waitcnt lgkmcnt(0)
	s_barrier
	ds_read_b128 v[0:3], v164 offset:7392
	ds_read_b128 v[4:7], v164
	ds_read_b128 v[8:11], v164 offset:3696
	ds_read_b128 v[12:15], v164 offset:11088
	;; [unrolled: 1-line block ×4, first 2 shown]
	s_waitcnt lgkmcnt(5)
	v_mul_f64 v[30:31], v[106:107], v[2:3]
	v_fmac_f64_e32 v[30:31], v[104:105], v[0:1]
	v_mul_f64 v[0:1], v[106:107], v[0:1]
	v_fma_f64 v[32:33], v[104:105], v[2:3], -v[0:1]
	s_waitcnt lgkmcnt(1)
	v_mul_f64 v[34:35], v[110:111], v[18:19]
	v_mul_f64 v[0:1], v[110:111], v[16:17]
	v_mad_u64_u32 v[26:27], s[0:1], s6, v186, 0
	v_fmac_f64_e32 v[34:35], v[108:109], v[16:17]
	v_fma_f64 v[16:17], v[108:109], v[18:19], -v[0:1]
	v_mul_f64 v[0:1], v[114:115], v[12:13]
	v_fma_f64 v[38:39], v[112:113], v[14:15], -v[0:1]
	s_waitcnt lgkmcnt(0)
	v_mul_f64 v[0:1], v[118:119], v[20:21]
	v_add_f64 v[2:3], v[30:31], v[34:35]
	s_mov_b32 s0, 0xe8584caa
	v_mul_f64 v[36:37], v[114:115], v[14:15]
	v_mul_f64 v[40:41], v[118:119], v[22:23]
	v_fma_f64 v[22:23], v[116:117], v[22:23], -v[0:1]
	v_add_f64 v[0:1], v[4:5], v[30:31]
	v_fmac_f64_e32 v[4:5], -0.5, v[2:3]
	v_add_f64 v[2:3], v[32:33], -v[16:17]
	s_mov_b32 s1, 0xbfebb67a
	s_mov_b32 s3, 0x3febb67a
	s_mov_b32 s2, s0
	v_fmac_f64_e32 v[36:37], v[112:113], v[12:13]
	v_fmac_f64_e32 v[40:41], v[116:117], v[20:21]
	v_fma_f64 v[12:13], s[0:1], v[2:3], v[4:5]
	v_fmac_f64_e32 v[4:5], s[2:3], v[2:3]
	v_add_f64 v[2:3], v[6:7], v[32:33]
	v_add_f64 v[14:15], v[32:33], v[16:17]
	;; [unrolled: 1-line block ×3, first 2 shown]
	v_fmac_f64_e32 v[6:7], -0.5, v[14:15]
	v_add_f64 v[16:17], v[30:31], -v[34:35]
	v_add_f64 v[18:19], v[36:37], v[40:41]
	v_fma_f64 v[14:15], s[2:3], v[16:17], v[6:7]
	v_fmac_f64_e32 v[6:7], s[0:1], v[16:17]
	v_add_f64 v[16:17], v[8:9], v[36:37]
	v_fmac_f64_e32 v[8:9], -0.5, v[18:19]
	v_add_f64 v[18:19], v[38:39], -v[22:23]
	v_fma_f64 v[20:21], s[0:1], v[18:19], v[8:9]
	v_fmac_f64_e32 v[8:9], s[2:3], v[18:19]
	v_add_f64 v[18:19], v[10:11], v[38:39]
	v_add_f64 v[18:19], v[18:19], v[22:23]
	;; [unrolled: 1-line block ×4, first 2 shown]
	v_fmac_f64_e32 v[10:11], -0.5, v[22:23]
	v_add_f64 v[30:31], v[36:37], -v[40:41]
	v_add_f64 v[16:17], v[16:17], v[40:41]
	v_fma_f64 v[22:23], s[2:3], v[30:31], v[10:11]
	v_fmac_f64_e32 v[10:11], s[0:1], v[30:31]
	ds_write_b128 v164, v[0:3]
	ds_write_b128 v164, v[12:15] offset:7392
	ds_write_b128 v164, v[4:7] offset:14784
	;; [unrolled: 1-line block ×5, first 2 shown]
	s_waitcnt lgkmcnt(0)
	s_barrier
	ds_read_b128 v[0:3], v164
	v_mov_b32_e32 v28, v27
	v_accvgpr_read_b32 v10, a24
	v_mad_u64_u32 v[4:5], s[0:1], s7, v186, v[28:29]
	v_accvgpr_read_b32 v12, a26
	v_accvgpr_read_b32 v13, a27
	v_mov_b32_e32 v27, v4
	ds_read_b128 v[4:7], v164 offset:3696
	v_accvgpr_read_b32 v11, a25
	s_waitcnt lgkmcnt(1)
	v_mul_f64 v[8:9], v[12:13], v[2:3]
	v_fmac_f64_e32 v[8:9], v[10:11], v[0:1]
	s_mov_b32 s0, 0x5e918c
	v_mul_f64 v[0:1], v[12:13], v[0:1]
	s_mov_b32 s1, 0x3f47a463
	v_fma_f64 v[0:1], v[10:11], v[2:3], -v[0:1]
	v_mad_u64_u32 v[12:13], s[2:3], s4, v178, 0
	v_mul_f64 v[10:11], v[0:1], s[0:1]
	v_mov_b32_e32 v0, v13
	v_mad_u64_u32 v[0:1], s[2:3], s5, v178, v[0:1]
	v_mov_b32_e32 v13, v0
	ds_read_b128 v[0:3], v164 offset:11088
	v_mov_b32_e32 v24, s12
	v_mov_b32_e32 v25, s13
	v_lshl_add_u64 v[14:15], v[26:27], 4, v[24:25]
	v_accvgpr_read_b32 v21, a19
	v_mul_f64 v[8:9], v[8:9], s[0:1]
	v_lshl_add_u64 v[16:17], v[12:13], 4, v[14:15]
	v_accvgpr_read_b32 v20, a18
	global_store_dwordx4 v[16:17], v[8:11], off
	ds_read_b128 v[8:11], v164 offset:7392
	v_accvgpr_read_b32 v19, a17
	v_accvgpr_read_b32 v18, a16
	s_waitcnt lgkmcnt(1)
	v_mul_f64 v[12:13], v[20:21], v[2:3]
	v_fmac_f64_e32 v[12:13], v[18:19], v[0:1]
	v_mul_f64 v[0:1], v[20:21], v[0:1]
	v_fma_f64 v[0:1], v[18:19], v[2:3], -v[0:1]
	v_mov_b32_e32 v18, 0x2b50
	v_mad_u64_u32 v[16:17], s[2:3], s4, v18, v[16:17]
	s_mul_i32 s6, s5, 0x2b50
	v_mul_f64 v[12:13], v[12:13], s[0:1]
	v_mul_f64 v[14:15], v[0:1], s[0:1]
	v_add_u32_e32 v17, s6, v17
	global_store_dwordx4 v[16:17], v[12:15], off
	v_mov_b32_e32 v19, 0xffffe320
	v_mad_u64_u32 v[16:17], s[2:3], s4, v19, v[16:17]
	v_accvgpr_read_b32 v15, a5
	v_accvgpr_read_b32 v14, a4
	;; [unrolled: 1-line block ×4, first 2 shown]
	v_mul_f64 v[0:1], v[14:15], v[6:7]
	v_mul_f64 v[2:3], v[14:15], v[4:5]
	v_fmac_f64_e32 v[0:1], v[12:13], v[4:5]
	v_fma_f64 v[2:3], v[12:13], v[6:7], -v[2:3]
	ds_read_b128 v[4:7], v164 offset:14784
	s_mul_i32 s2, s5, 0xffffe320
	s_sub_i32 s5, s2, s4
	v_accvgpr_read_b32 v23, a9
	v_mul_f64 v[0:1], v[0:1], s[0:1]
	v_mul_f64 v[2:3], v[2:3], s[0:1]
	v_add_u32_e32 v17, s5, v17
	v_accvgpr_read_b32 v22, a8
	global_store_dwordx4 v[16:17], v[0:3], off
	ds_read_b128 v[0:3], v164 offset:18480
	v_accvgpr_read_b32 v21, a7
	v_accvgpr_read_b32 v20, a6
	s_waitcnt lgkmcnt(1)
	v_mul_f64 v[12:13], v[22:23], v[6:7]
	v_fmac_f64_e32 v[12:13], v[20:21], v[4:5]
	v_mul_f64 v[4:5], v[22:23], v[4:5]
	v_fma_f64 v[4:5], v[20:21], v[6:7], -v[4:5]
	v_mad_u64_u32 v[16:17], s[2:3], s4, v18, v[16:17]
	v_mul_f64 v[12:13], v[12:13], s[0:1]
	v_mul_f64 v[14:15], v[4:5], s[0:1]
	v_add_u32_e32 v17, s6, v17
	global_store_dwordx4 v[16:17], v[12:15], off
	s_nop 1
	v_accvgpr_read_b32 v12, a12
	v_accvgpr_read_b32 v14, a14
	;; [unrolled: 1-line block ×4, first 2 shown]
	v_mul_f64 v[4:5], v[14:15], v[10:11]
	v_mul_f64 v[6:7], v[14:15], v[8:9]
	v_fmac_f64_e32 v[4:5], v[12:13], v[8:9]
	v_fma_f64 v[6:7], v[12:13], v[10:11], -v[6:7]
	v_mad_u64_u32 v[8:9], s[2:3], s4, v19, v[16:17]
	v_accvgpr_read_b32 v10, a20
	v_mul_f64 v[4:5], v[4:5], s[0:1]
	v_mul_f64 v[6:7], v[6:7], s[0:1]
	v_add_u32_e32 v9, s5, v9
	v_accvgpr_read_b32 v12, a22
	v_accvgpr_read_b32 v13, a23
	global_store_dwordx4 v[8:9], v[4:7], off
	v_accvgpr_read_b32 v11, a21
	s_waitcnt lgkmcnt(0)
	v_mul_f64 v[4:5], v[12:13], v[2:3]
	v_fmac_f64_e32 v[4:5], v[10:11], v[0:1]
	v_mul_f64 v[0:1], v[12:13], v[0:1]
	v_fma_f64 v[0:1], v[10:11], v[2:3], -v[0:1]
	v_mul_f64 v[4:5], v[4:5], s[0:1]
	v_mul_f64 v[6:7], v[0:1], s[0:1]
	v_mad_u64_u32 v[0:1], s[0:1], s4, v18, v[8:9]
	v_add_u32_e32 v1, s6, v1
	global_store_dwordx4 v[0:1], v[4:7], off
.LBB0_18:
	s_endpgm
	.section	.rodata,"a",@progbits
	.p2align	6, 0x0
	.amdhsa_kernel bluestein_single_back_len1386_dim1_dp_op_CI_CI
		.amdhsa_group_segment_fixed_size 22176
		.amdhsa_private_segment_fixed_size 0
		.amdhsa_kernarg_size 104
		.amdhsa_user_sgpr_count 2
		.amdhsa_user_sgpr_dispatch_ptr 0
		.amdhsa_user_sgpr_queue_ptr 0
		.amdhsa_user_sgpr_kernarg_segment_ptr 1
		.amdhsa_user_sgpr_dispatch_id 0
		.amdhsa_user_sgpr_kernarg_preload_length 0
		.amdhsa_user_sgpr_kernarg_preload_offset 0
		.amdhsa_user_sgpr_private_segment_size 0
		.amdhsa_uses_dynamic_stack 0
		.amdhsa_enable_private_segment 0
		.amdhsa_system_sgpr_workgroup_id_x 1
		.amdhsa_system_sgpr_workgroup_id_y 0
		.amdhsa_system_sgpr_workgroup_id_z 0
		.amdhsa_system_sgpr_workgroup_info 0
		.amdhsa_system_vgpr_workitem_id 0
		.amdhsa_next_free_vgpr 364
		.amdhsa_next_free_sgpr 40
		.amdhsa_accum_offset 256
		.amdhsa_reserve_vcc 1
		.amdhsa_float_round_mode_32 0
		.amdhsa_float_round_mode_16_64 0
		.amdhsa_float_denorm_mode_32 3
		.amdhsa_float_denorm_mode_16_64 3
		.amdhsa_dx10_clamp 1
		.amdhsa_ieee_mode 1
		.amdhsa_fp16_overflow 0
		.amdhsa_tg_split 0
		.amdhsa_exception_fp_ieee_invalid_op 0
		.amdhsa_exception_fp_denorm_src 0
		.amdhsa_exception_fp_ieee_div_zero 0
		.amdhsa_exception_fp_ieee_overflow 0
		.amdhsa_exception_fp_ieee_underflow 0
		.amdhsa_exception_fp_ieee_inexact 0
		.amdhsa_exception_int_div_zero 0
	.end_amdhsa_kernel
	.text
.Lfunc_end0:
	.size	bluestein_single_back_len1386_dim1_dp_op_CI_CI, .Lfunc_end0-bluestein_single_back_len1386_dim1_dp_op_CI_CI
                                        ; -- End function
	.section	.AMDGPU.csdata,"",@progbits
; Kernel info:
; codeLenInByte = 14904
; NumSgprs: 46
; NumVgprs: 256
; NumAgprs: 108
; TotalNumVgprs: 364
; ScratchSize: 0
; MemoryBound: 0
; FloatMode: 240
; IeeeMode: 1
; LDSByteSize: 22176 bytes/workgroup (compile time only)
; SGPRBlocks: 5
; VGPRBlocks: 45
; NumSGPRsForWavesPerEU: 46
; NumVGPRsForWavesPerEU: 364
; AccumOffset: 256
; Occupancy: 1
; WaveLimiterHint : 1
; COMPUTE_PGM_RSRC2:SCRATCH_EN: 0
; COMPUTE_PGM_RSRC2:USER_SGPR: 2
; COMPUTE_PGM_RSRC2:TRAP_HANDLER: 0
; COMPUTE_PGM_RSRC2:TGID_X_EN: 1
; COMPUTE_PGM_RSRC2:TGID_Y_EN: 0
; COMPUTE_PGM_RSRC2:TGID_Z_EN: 0
; COMPUTE_PGM_RSRC2:TIDIG_COMP_CNT: 0
; COMPUTE_PGM_RSRC3_GFX90A:ACCUM_OFFSET: 63
; COMPUTE_PGM_RSRC3_GFX90A:TG_SPLIT: 0
	.text
	.p2alignl 6, 3212836864
	.fill 256, 4, 3212836864
	.type	__hip_cuid_681e68d967503b27,@object ; @__hip_cuid_681e68d967503b27
	.section	.bss,"aw",@nobits
	.globl	__hip_cuid_681e68d967503b27
__hip_cuid_681e68d967503b27:
	.byte	0                               ; 0x0
	.size	__hip_cuid_681e68d967503b27, 1

	.ident	"AMD clang version 19.0.0git (https://github.com/RadeonOpenCompute/llvm-project roc-6.4.0 25133 c7fe45cf4b819c5991fe208aaa96edf142730f1d)"
	.section	".note.GNU-stack","",@progbits
	.addrsig
	.addrsig_sym __hip_cuid_681e68d967503b27
	.amdgpu_metadata
---
amdhsa.kernels:
  - .agpr_count:     108
    .args:
      - .actual_access:  read_only
        .address_space:  global
        .offset:         0
        .size:           8
        .value_kind:     global_buffer
      - .actual_access:  read_only
        .address_space:  global
        .offset:         8
        .size:           8
        .value_kind:     global_buffer
      - .actual_access:  read_only
        .address_space:  global
        .offset:         16
        .size:           8
        .value_kind:     global_buffer
      - .actual_access:  read_only
        .address_space:  global
        .offset:         24
        .size:           8
        .value_kind:     global_buffer
      - .actual_access:  read_only
        .address_space:  global
        .offset:         32
        .size:           8
        .value_kind:     global_buffer
      - .offset:         40
        .size:           8
        .value_kind:     by_value
      - .address_space:  global
        .offset:         48
        .size:           8
        .value_kind:     global_buffer
      - .address_space:  global
        .offset:         56
        .size:           8
        .value_kind:     global_buffer
      - .address_space:  global
        .offset:         64
        .size:           8
        .value_kind:     global_buffer
      - .address_space:  global
        .offset:         72
        .size:           8
        .value_kind:     global_buffer
      - .offset:         80
        .size:           4
        .value_kind:     by_value
      - .address_space:  global
        .offset:         88
        .size:           8
        .value_kind:     global_buffer
      - .address_space:  global
        .offset:         96
        .size:           8
        .value_kind:     global_buffer
    .group_segment_fixed_size: 22176
    .kernarg_segment_align: 8
    .kernarg_segment_size: 104
    .language:       OpenCL C
    .language_version:
      - 2
      - 0
    .max_flat_workgroup_size: 231
    .name:           bluestein_single_back_len1386_dim1_dp_op_CI_CI
    .private_segment_fixed_size: 0
    .sgpr_count:     46
    .sgpr_spill_count: 0
    .symbol:         bluestein_single_back_len1386_dim1_dp_op_CI_CI.kd
    .uniform_work_group_size: 1
    .uses_dynamic_stack: false
    .vgpr_count:     364
    .vgpr_spill_count: 0
    .wavefront_size: 64
amdhsa.target:   amdgcn-amd-amdhsa--gfx950
amdhsa.version:
  - 1
  - 2
...

	.end_amdgpu_metadata
